;; amdgpu-corpus repo=ROCm/aiter kind=harvested arch=n/a opt=n/a

/root/src/amdgpu-assembly/repos/ROCm__aiter/hsa/gfx950/fmoe/gelu/fmoe_fp16_pertokenInt8_g1u0_vs_gelu_1tg_32x192.co:	file format elf64-amdgpu

Disassembly of section .text:

0000000000002e00 <_ZN5aiter46fmoe_fp16_pertokenInt8_g1u0_vs_gelu_1tg_32x192E>:
	s_and_b32 s1, s1, 0xffff                                   // 000000002E00: 8601FF01 0000FFFF
	s_load_dwordx2 s[8:9], s[0:1], 0x0                         // 000000002E08: C0060200 00000000
	s_load_dwordx2 s[20:21], s[0:1], 0x10                      // 000000002E10: C0060500 00000010
	s_load_dwordx2 s[24:25], s[0:1], 0x20                      // 000000002E18: C0060600 00000020
	s_load_dwordx2 s[50:51], s[0:1], 0x30                      // 000000002E20: C0060C80 00000030
	s_load_dwordx2 s[12:13], s[0:1], 0x40                      // 000000002E28: C0060300 00000040
	s_load_dwordx2 s[28:29], s[0:1], 0x50                      // 000000002E30: C0060700 00000050
	s_load_dwordx2 s[32:33], s[0:1], 0x60                      // 000000002E38: C0060800 00000060
	s_load_dwordx2 s[16:17], s[0:1], 0x70                      // 000000002E40: C0060400 00000070
	s_load_dwordx2 s[36:37], s[0:1], 0x80                      // 000000002E48: C0060900 00000080
	s_load_dwordx2 s[44:45], s[0:1], 0x90                      // 000000002E50: C0060B00 00000090
	s_load_dwordx2 s[40:41], s[0:1], 0xa0                      // 000000002E58: C0060A00 000000A0
	s_load_dwordx2 s[46:47], s[0:1], 0xb0                      // 000000002E60: C0060B80 000000B0
	s_load_dword s64, s[0:1], 0xc0                             // 000000002E68: C0021000 000000C0
	s_load_dword s65, s[0:1], 0xd0                             // 000000002E70: C0021040 000000D0
	s_load_dword s66, s[0:1], 0xe0                             // 000000002E78: C0021080 000000E0
	s_load_dword s67, s[0:1], 0xf0                             // 000000002E80: C00210C0 000000F0
	s_load_dword s68, s[0:1], 0x100                            // 000000002E88: C0021100 00000100
	s_load_dword s69, s[0:1], 0x110                            // 000000002E90: C0021140 00000110
	s_load_dword s70, s[0:1], 0x120                            // 000000002E98: C0021180 00000120
	s_load_dword s71, s[0:1], 0x130                            // 000000002EA0: C00211C0 00000130
	s_load_dword s72, s[0:1], 0x140                            // 000000002EA8: C0021200 00000140
	s_load_dword s73, s[0:1], 0x150                            // 000000002EB0: C0021240 00000150
	s_load_dword s74, s[0:1], 0x160                            // 000000002EB8: C0021280 00000160
	s_load_dword s75, s[0:1], 0x170                            // 000000002EC0: C00212C0 00000170
	s_load_dword s76, s[0:1], 0x180                            // 000000002EC8: C0021300 00000180
	s_load_dword s63, s[0:1], 0x190                            // 000000002ED0: C0020FC0 00000190
	v_lshrrev_b32_e32 v1, 10, v0                               // 000000002ED8: 2002008A
	v_lshrrev_b32_e32 v2, 10, v1                               // 000000002EDC: 2004028A
	v_and_b32_e32 v2, 0x3ff, v2                                // 000000002EE0: 260404FF 000003FF
	v_and_b32_e32 v1, 0x3ff, v1                                // 000000002EE8: 260202FF 000003FF
	v_and_b32_e32 v0, 0x3ff, v0                                // 000000002EF0: 260000FF 000003FF
	v_lshrrev_b32_e32 v3, 6, v0                                // 000000002EF8: 20060086
	v_and_b32_e32 v0, 63, v0                                   // 000000002EFC: 260000BF
	s_mov_b32 s2, s2                                           // 000000002F00: BE820002
	s_mov_b32 s3, s3                                           // 000000002F04: BE830003
	s_mov_b32 s4, s4                                           // 000000002F08: BE840004
	v_readfirstlane_b32 s7, v3                                 // 000000002F0C: 7E0E0503
	s_waitcnt lgkmcnt(0)                                       // 000000002F10: BF8CC07F
	s_and_b32 s51, s51, 0xffff                                 // 000000002F14: 8633FF33 0000FFFF
	s_load_dword s50, s[50:51], 0x0                            // 000000002F1C: C0020C99 00000000
	s_and_b32 s45, s45, 0xffff                                 // 000000002F24: 862DFF2D 0000FFFF
	s_and_b32 s47, s47, 0xffff                                 // 000000002F2C: 862FFF2F 0000FFFF
	s_and_b32 s9, s9, 0xffff                                   // 000000002F34: 8609FF09 0000FFFF
	s_mul_i32 s60, s66, s68                                    // 000000002F3C: 923C4442
	s_mul_i32 s60, s63, s60                                    // 000000002F40: 923C3C3F
	s_mul_i32 s61, s66, 4                                      // 000000002F44: 923D8442
	s_mul_i32 s61, s63, s61                                    // 000000002F48: 923D3D3F
	s_mov_b32 s22, s60                                         // 000000002F4C: BE96003C
	s_mov_b32 s26, -16                                         // 000000002F50: BE9A00D0
	s_mov_b32 s14, -16                                         // 000000002F54: BE8E00D0
	s_mov_b32 s42, -16                                         // 000000002F58: BEAA00D0
	s_mov_b32 s30, s61                                         // 000000002F5C: BE9E003D
	s_mov_b32 s34, 0x300                                       // 000000002F60: BEA200FF 00000300
	s_mov_b32 s38, 0x300                                       // 000000002F68: BEA600FF 00000300
	s_mov_b32 s18, -16                                         // 000000002F70: BE9200D0
	s_mov_b32 s23, 0x20000                                     // 000000002F74: BE9700FF 00020000
	s_mov_b32 s27, 0x20000                                     // 000000002F7C: BE9B00FF 00020000
	s_mov_b32 s15, 0x20000                                     // 000000002F84: BE8F00FF 00020000
	s_mov_b32 s43, 0x20000                                     // 000000002F8C: BEAB00FF 00020000
	s_mov_b32 s31, 0x20000                                     // 000000002F94: BE9F00FF 00020000
	s_mov_b32 s35, 0x20000                                     // 000000002F9C: BEA300FF 00020000
	s_mov_b32 s39, 0x20000                                     // 000000002FA4: BEA700FF 00020000
	s_mov_b32 s19, 0x20000                                     // 000000002FAC: BE9300FF 00020000
	s_and_b32 s21, s21, 0xffff                                 // 000000002FB4: 8615FF15 0000FFFF
	s_and_b32 s25, s25, 0xffff                                 // 000000002FBC: 8619FF19 0000FFFF
	s_and_b32 s13, s13, 0xffff                                 // 000000002FC4: 860DFF0D 0000FFFF
	s_and_b32 s41, s41, 0xffff                                 // 000000002FCC: 8629FF29 0000FFFF
	s_and_b32 s29, s29, 0xffff                                 // 000000002FD4: 861DFF1D 0000FFFF
	s_and_b32 s33, s33, 0xffff                                 // 000000002FDC: 8621FF21 0000FFFF
	s_and_b32 s37, s37, 0xffff                                 // 000000002FE4: 8625FF25 0000FFFF
	s_and_b32 s17, s17, 0xffff                                 // 000000002FEC: 8611FF11 0000FFFF
	s_or_b32 s21, s21, 0x40000                                 // 000000002FF4: 8715FF15 00040000
	s_or_b32 s25, s25, 0x40000                                 // 000000002FFC: 8719FF19 00040000
	s_or_b32 s13, s13, 0x40000                                 // 000000003004: 870DFF0D 00040000
	s_or_b32 s41, s41, 0x40000                                 // 00000000300C: 8729FF29 00040000
	s_or_b32 s29, s29, 0x40000                                 // 000000003014: 871DFF1D 00040000
	s_or_b32 s33, s33, 0x40000                                 // 00000000301C: 8721FF21 00040000
	s_or_b32 s37, s37, 0x40000                                 // 000000003024: 8725FF25 00040000
	s_or_b32 s17, s17, 0x40000                                 // 00000000302C: 8711FF11 00040000
	v_accvgpr_write_b32 a95, 0                                 // 000000003034: D3D9405F 18000080
	v_mov_b32_e32 v215, 0                                      // 00000000303C: 7FAE0280
	s_waitcnt lgkmcnt(0)                                       // 000000003040: BF8CC07F
	s_mul_i32 s60, s3, 32                                      // 000000003044: 923CA003
	s_cmp_lt_i32 s60, s50                                      // 000000003048: BF04323C
	s_cbranch_scc0 label_11E6                                  // 00000000304C: BF841152
	s_mov_b32 s80, 0                                           // 000000003050: BED00080
	s_mov_b32 s81, s64                                         // 000000003054: BED10040
	s_mul_i32 s60, s3, 4                                       // 000000003058: 923C8403
	s_add_u32 s46, s60, s46                                    // 00000000305C: 802E2E3C
	s_addc_u32 s47, 0, s47                                     // 000000003060: 822F2F80
	s_load_dword s5, s[46:47], 0x0                             // 000000003064: C0020157 00000000
	s_mul_i32 s60, s3, 32                                      // 00000000306C: 923CA003
	s_mul_i32 s60, 4, s60                                      // 000000003070: 923C3C84
	v_and_b32_e32 v44, 15, v0                                  // 000000003074: 2658008F
	v_lshlrev_b32_e32 v44, 2, v44                              // 000000003078: 24585882
	v_add_u32_e32 v44, s60, v44                                // 00000000307C: 6858583C
	v_mov_b32_e32 v45, 0                                       // 000000003080: 7E5A0280
	global_load_dword v6, v44, s[44:45]                        // 000000003084: DC508000 062C002C
	v_add_u32_e32 v44, 64, v44                                 // 00000000308C: 685858C0
	global_load_dword v7, v44, s[44:45]                        // 000000003090: DC508000 072C002C
	s_mul_i32 s60, s3, 32                                      // 000000003098: 923CA003
	s_add_u32 s60, s7, s60                                     // 00000000309C: 803C3C07
	s_mul_i32 s60, 4, s60                                      // 0000000030A0: 923C3C84
	s_add_u32 s44, s60, s44                                    // 0000000030A4: 802C2C3C
	s_addc_u32 s45, 0, s45                                     // 0000000030A8: 822D2D80
	s_load_dword s82, s[44:45], 0x0                            // 0000000030AC: C0021496 00000000
	s_load_dword s83, s[44:45], 0x10                           // 0000000030B4: C00214D6 00000010
	s_load_dword s84, s[44:45], 0x20                           // 0000000030BC: C0021516 00000020
	s_load_dword s85, s[44:45], 0x30                           // 0000000030C4: C0021556 00000030
	s_load_dword s86, s[44:45], 0x40                           // 0000000030CC: C0021596 00000040
	s_load_dword s87, s[44:45], 0x50                           // 0000000030D4: C00215D6 00000050
	s_load_dword s88, s[44:45], 0x60                           // 0000000030DC: C0021616 00000060
	s_load_dword s89, s[44:45], 0x70                           // 0000000030E4: C0021656 00000070
	s_waitcnt lgkmcnt(0)                                       // 0000000030EC: BF8CC07F
	v_lshlrev_b32_e32 v44, 2, v0                               // 0000000030F0: 24580082
	s_lshr_b32 s61, s82, 24                                    // 0000000030F4: 8F3D9852
	s_mul_i32 s61, s61, s68                                    // 0000000030F8: 923D443D
	s_mul_i32 s61, s61, s66                                    // 0000000030FC: 923D423D
	s_and_b32 s82, s82, 0xffffff                               // 000000003100: 8652FF52 00FFFFFF
	s_mul_i32 s60, s82, s68                                    // 000000003108: 923C4452
	s_add_u32 s60, s61, s60                                    // 00000000310C: 803C3C3D
	v_add_u32_e64 v24, v44, s60                                // 000000003110: D1340018 0000792C
	s_lshr_b32 s61, s83, 24                                    // 000000003118: 8F3D9853
	s_mul_i32 s61, s61, s68                                    // 00000000311C: 923D443D
	s_mul_i32 s61, s61, s66                                    // 000000003120: 923D423D
	s_and_b32 s83, s83, 0xffffff                               // 000000003124: 8653FF53 00FFFFFF
	s_mul_i32 s60, s83, s68                                    // 00000000312C: 923C4453
	s_add_u32 s60, s61, s60                                    // 000000003130: 803C3C3D
	v_add_u32_e64 v25, v44, s60                                // 000000003134: D1340019 0000792C
	s_lshr_b32 s61, s84, 24                                    // 00000000313C: 8F3D9854
	s_mul_i32 s61, s61, s68                                    // 000000003140: 923D443D
	s_mul_i32 s61, s61, s66                                    // 000000003144: 923D423D
	s_and_b32 s84, s84, 0xffffff                               // 000000003148: 8654FF54 00FFFFFF
	s_mul_i32 s60, s84, s68                                    // 000000003150: 923C4454
	s_add_u32 s60, s61, s60                                    // 000000003154: 803C3C3D
	v_add_u32_e64 v26, v44, s60                                // 000000003158: D134001A 0000792C
	s_lshr_b32 s61, s85, 24                                    // 000000003160: 8F3D9855
	s_mul_i32 s61, s61, s68                                    // 000000003164: 923D443D
	s_mul_i32 s61, s61, s66                                    // 000000003168: 923D423D
	s_and_b32 s85, s85, 0xffffff                               // 00000000316C: 8655FF55 00FFFFFF
	s_mul_i32 s60, s85, s68                                    // 000000003174: 923C4455
	s_add_u32 s60, s61, s60                                    // 000000003178: 803C3C3D
	v_add_u32_e64 v27, v44, s60                                // 00000000317C: D134001B 0000792C
	s_lshr_b32 s61, s86, 24                                    // 000000003184: 8F3D9856
	s_mul_i32 s61, s61, s68                                    // 000000003188: 923D443D
	s_mul_i32 s61, s61, s66                                    // 00000000318C: 923D423D
	s_and_b32 s86, s86, 0xffffff                               // 000000003190: 8656FF56 00FFFFFF
	s_mul_i32 s60, s86, s68                                    // 000000003198: 923C4456
	s_add_u32 s60, s61, s60                                    // 00000000319C: 803C3C3D
	v_add_u32_e64 v28, v44, s60                                // 0000000031A0: D134001C 0000792C
	s_lshr_b32 s61, s87, 24                                    // 0000000031A8: 8F3D9857
	s_mul_i32 s61, s61, s68                                    // 0000000031AC: 923D443D
	s_mul_i32 s61, s61, s66                                    // 0000000031B0: 923D423D
	s_and_b32 s87, s87, 0xffffff                               // 0000000031B4: 8657FF57 00FFFFFF
	s_mul_i32 s60, s87, s68                                    // 0000000031BC: 923C4457
	s_add_u32 s60, s61, s60                                    // 0000000031C0: 803C3C3D
	v_add_u32_e64 v29, v44, s60                                // 0000000031C4: D134001D 0000792C
	s_lshr_b32 s61, s88, 24                                    // 0000000031CC: 8F3D9858
	s_mul_i32 s61, s61, s68                                    // 0000000031D0: 923D443D
	s_mul_i32 s61, s61, s66                                    // 0000000031D4: 923D423D
	s_and_b32 s88, s88, 0xffffff                               // 0000000031D8: 8658FF58 00FFFFFF
	s_mul_i32 s60, s88, s68                                    // 0000000031E0: 923C4458
	s_add_u32 s60, s61, s60                                    // 0000000031E4: 803C3C3D
	v_add_u32_e64 v30, v44, s60                                // 0000000031E8: D134001E 0000792C
	s_lshr_b32 s61, s89, 24                                    // 0000000031F0: 8F3D9859
	s_mul_i32 s61, s61, s68                                    // 0000000031F4: 923D443D
	s_mul_i32 s61, s61, s66                                    // 0000000031F8: 923D423D
	s_and_b32 s89, s89, 0xffffff                               // 0000000031FC: 8659FF59 00FFFFFF
	s_mul_i32 s60, s89, s68                                    // 000000003204: 923C4459
	s_add_u32 s60, s61, s60                                    // 000000003208: 803C3C3D
	v_add_u32_e64 v31, v44, s60                                // 00000000320C: D134001F 0000792C
	v_lshlrev_b32_e32 v44, 2, v0                               // 000000003214: 24580082
	s_mul_i32 s60, s82, s71                                    // 000000003218: 923C4752
	v_add_u32_e64 v80, v44, s60                                // 00000000321C: D1340050 0000792C
	v_mov_b32_e32 v81, 0                                       // 000000003224: 7EA20280
	s_mul_i32 s60, s83, s71                                    // 000000003228: 923C4753
	v_add_u32_e64 v82, v44, s60                                // 00000000322C: D1340052 0000792C
	v_mov_b32_e32 v83, 0                                       // 000000003234: 7EA60280
	s_mul_i32 s60, s84, s71                                    // 000000003238: 923C4754
	v_add_u32_e64 v84, v44, s60                                // 00000000323C: D1340054 0000792C
	v_mov_b32_e32 v85, 0                                       // 000000003244: 7EAA0280
	s_mul_i32 s60, s85, s71                                    // 000000003248: 923C4755
	v_add_u32_e64 v86, v44, s60                                // 00000000324C: D1340056 0000792C
	v_mov_b32_e32 v87, 0                                       // 000000003254: 7EAE0280
	s_mul_i32 s60, s86, s71                                    // 000000003258: 923C4756
	v_add_u32_e64 v88, v44, s60                                // 00000000325C: D1340058 0000792C
	v_mov_b32_e32 v89, 0                                       // 000000003264: 7EB20280
	s_mul_i32 s60, s87, s71                                    // 000000003268: 923C4757
	v_add_u32_e64 v90, v44, s60                                // 00000000326C: D134005A 0000792C
	v_mov_b32_e32 v91, 0                                       // 000000003274: 7EB60280
	s_mul_i32 s60, s88, s71                                    // 000000003278: 923C4758
	v_add_u32_e64 v92, v44, s60                                // 00000000327C: D134005C 0000792C
	v_mov_b32_e32 v93, 0                                       // 000000003284: 7EBA0280
	s_mul_i32 s60, s89, s71                                    // 000000003288: 923C4759
	v_add_u32_e64 v94, v44, s60                                // 00000000328C: D134005E 0000792C
	v_mov_b32_e32 v95, 0                                       // 000000003294: 7EBE0280
	s_mul_i32 s60, s7, 0x820                                   // 000000003298: 923CFF07 00000820
	s_add_u32 s50, 0, s60                                      // 0000000032A0: 80323C80
	s_add_u32 s51, 0x2080, s50                                 // 0000000032A4: 803332FF 00002080
	v_lshrrev_b32_e32 v44, 4, v0                               // 0000000032AC: 20580084
	v_lshlrev_b32_e32 v45, 2, v44                              // 0000000032B0: 245A5882
	v_and_b32_e32 v44, 15, v0                                  // 0000000032B4: 2658008F
	v_lshrrev_b32_e32 v46, 2, v44                              // 0000000032B8: 205C5882
	v_lshlrev_b32_e32 v46, 6, v46                              // 0000000032BC: 245C5C86
	v_add_u32_e32 v45, v46, v45                                // 0000000032C0: 685A5B2E
	v_and_b32_e32 v44, 3, v0                                   // 0000000032C4: 26580083
	v_mul_i32_i24_e32 v46, 0x208, v44                          // 0000000032C8: 0C5C58FF 00000208
	v_add_u32_e32 v45, v46, v45                                // 0000000032D0: 685A5B2E
	v_lshlrev_b32_e32 v2, 2, v45                               // 0000000032D4: 24045A82
	s_mul_i32 s60, s2, 0xc0                                    // 0000000032D8: 923CFF02 000000C0
	s_mul_i32 s60, s60, s69                                    // 0000000032E0: 923C453C
	s_mul_i32 s61, s5, s72                                     // 0000000032E4: 923D4805
	s_add_u32 s60, s61, s60                                    // 0000000032E8: 803C3C3D
	s_add_u32 s24, s60, s24                                    // 0000000032EC: 8018183C
	s_addc_u32 s25, 0, s25                                     // 0000000032F0: 82191980
	s_mul_i32 s60, s7, 16                                      // 0000000032F4: 923C9007
	s_mul_i32 s60, s60, s69                                    // 0000000032F8: 923C453C
	v_lshlrev_b32_e32 v32, 4, v0                               // 0000000032FC: 24400084
	v_add_u32_e32 v32, s60, v32                                // 000000003300: 6840403C
	s_mul_i32 s60, 64, s69                                     // 000000003304: 923C45C0
	v_add_u32_e32 v33, s60, v32                                // 000000003308: 6842403C
	v_add_u32_e32 v34, s60, v33                                // 00000000330C: 6844423C
	s_mul_i32 s60, s2, 0xc00                                   // 000000003310: 923CFF02 00000C00
	s_mul_i32 s61, s5, s73                                     // 000000003318: 923D4905
	s_add_u32 s60, s61, s60                                    // 00000000331C: 803C3C3D
	s_add_u32 s12, s60, s12                                    // 000000003320: 800C0C3C
	s_addc_u32 s13, 0, s13                                     // 000000003324: 820D0D80
	s_mul_i32 s60, s7, 16                                      // 000000003328: 923C9007
	s_mul_i32 s60, s60, s70                                    // 00000000332C: 923C463C
	v_lshlrev_b32_e32 v35, 4, v0                               // 000000003330: 24460084
	v_add_u32_e32 v35, s60, v35                                // 000000003334: 6846463C
	s_mul_i32 s60, 64, s70                                     // 000000003338: 923C46C0
	v_add_u32_e32 v36, s60, v35                                // 00000000333C: 6848463C
	v_add_u32_e32 v37, s60, v36                                // 000000003340: 684A483C
	v_add_u32_e32 v38, s60, v37                                // 000000003344: 684C4A3C
	s_mul_i32 s60, s3, 32                                      // 000000003348: 923CA003
	s_mul_i32 s60, 4, s60                                      // 00000000334C: 923C3C84
	s_add_u32 s40, s60, s40                                    // 000000003350: 8028283C
	s_addc_u32 s41, 0, s41                                     // 000000003354: 82292980
	v_and_b32_e32 v44, 15, v0                                  // 000000003358: 2658008F
	v_lshlrev_b32_e32 v8, 2, v44                               // 00000000335C: 24105882
	v_add_u32_e32 v9, 64, v8                                   // 000000003360: 681210C0
	v_lshrrev_b32_e32 v44, 4, v0                               // 000000003364: 20580084
	v_lshlrev_b32_e32 v45, 2, v44                              // 000000003368: 245A5882
	v_and_b32_e32 v44, 15, v0                                  // 00000000336C: 2658008F
	v_lshrrev_b32_e32 v46, 2, v44                              // 000000003370: 205C5882
	v_lshlrev_b32_e32 v46, 6, v46                              // 000000003374: 245C5C86
	v_add_u32_e32 v45, v46, v45                                // 000000003378: 685A5B2E
	v_and_b32_e32 v44, 3, v0                                   // 00000000337C: 26580083
	v_add_u32_e32 v45, v44, v45                                // 000000003380: 685A5B2C
	v_lshlrev_b32_e32 v10, 2, v45                              // 000000003384: 24145A82
	v_add_u32_e32 v11, 0x400, v10                              // 000000003388: 681614FF 00000400
	s_mul_i32 s60, s7, 16                                      // 000000003390: 923C9007
	s_mul_i32 s60, s60, 4                                      // 000000003394: 923C843C
	v_add_u32_e32 v10, s60, v10                                // 000000003398: 6814143C
	v_add_u32_e32 v11, s60, v11                                // 00000000339C: 6816163C
	v_mov_b32_e32 v5, v10                                      // 0000000033A0: 7E0A030A
	s_mul_i32 s60, s2, 0xc0                                    // 0000000033A4: 923CFF02 000000C0
	s_mul_i32 s60, s60, 4                                      // 0000000033AC: 923C843C
	s_mul_i32 s61, s5, s74                                     // 0000000033B0: 923D4A05
	s_add_u32 s61, s61, s60                                    // 0000000033B4: 803D3C3D
	s_mul_i32 s62, s5, s76                                     // 0000000033B8: 923E4C05
	s_add_u32 s62, s62, s60                                    // 0000000033BC: 803E3C3E
	s_add_u32 s32, s61, s32                                    // 0000000033C0: 8020203D
	s_addc_u32 s33, 0, s33                                     // 0000000033C4: 82212180
	s_add_u32 s36, s62, s36                                    // 0000000033C8: 8024243E
	s_addc_u32 s37, 0, s37                                     // 0000000033CC: 82252580
	s_mul_i32 s60, s5, s75                                     // 0000000033D0: 923C4B05
	s_add_u32 s16, s60, s16                                    // 0000000033D4: 8010103C
	s_addc_u32 s17, 0, s17                                     // 0000000033D8: 82111180
	s_mov_b32 s57, 0x100                                       // 0000000033DC: BEB900FF 00000100
	s_mov_b32 s58, 0x1000                                      // 0000000033E4: BEBA00FF 00001000
	s_mov_b32 s79, 0x400                                       // 0000000033EC: BECF00FF 00000400
	s_mov_b32 s59, 0x200                                       // 0000000033F4: BEBB00FF 00000200
	s_mul_i32 s60, s70, 0x100                                  // 0000000033FC: 923CFF46 00000100
	s_mov_b32 s78, 0x400                                       // 000000003404: BECE00FF 00000400
	s_mul_i32 s61, s78, 2                                      // 00000000340C: 923D824E
	s_sub_u32 s56, s60, s61                                    // 000000003410: 80B83D3C
	s_mov_b32 s52, 0x7060302                                   // 000000003414: BEB400FF 07060302
	s_mov_b32 s53, 0x400                                       // 00000000341C: BEB500FF 00000400
	s_mov_b32 s54, 0x40100                                     // 000000003424: BEB600FF 00040100
	s_mov_b32 s55, 0x4020100                                   // 00000000342C: BEB700FF 04020100
	s_mov_b32 s6, 0x3fb8aa3b                                   // 000000003434: BE8600FF 3FB8AA3B
	s_mov_b32 s77, 0xbd92220c                                  // 00000000343C: BECD00FF BD92220C
	s_mov_b32 m0, s50                                          // 000000003444: BEFC0032
	v_mov_b32_e32 v1, 0xbfcc4231                               // 000000003448: 7E0202FF BFCC4231
	v_mov_b32_e32 v40, 0xffff0000                              // 000000003450: 7E5002FF FFFF0000
	v_mov_b32_e32 v41, 0x7fff0000                              // 000000003458: 7E5202FF 7FFF0000
	v_mov_b32_e32 v42, 0x7fff                                  // 000000003460: 7E5402FF 00007FFF
	s_waitcnt vmcnt(0) expcnt(0) lgkmcnt(0)                    // 000000003468: BF8C0000
	v_lshrrev_b32_e32 v44, 24, v6                              // 00000000346C: 20580C98
	v_mul_i32_i24_e32 v44, s66, v44                            // 000000003470: 0C585842
	v_and_b32_e32 v45, 0xffffff, v6                            // 000000003474: 265A0CFF 00FFFFFF
	v_add_u32_e32 v6, v44, v45                                 // 00000000347C: 680C5B2C
	v_lshrrev_b32_e32 v44, 24, v7                              // 000000003480: 20580E98
	v_mul_i32_i24_e32 v44, s66, v44                            // 000000003484: 0C585842
	v_and_b32_e32 v45, 0xffffff, v7                            // 000000003488: 265A0EFF 00FFFFFF
	v_add_u32_e32 v7, v44, v45                                 // 000000003490: 680E5B2C
	v_lshlrev_b32_e32 v6, 2, v6                                // 000000003494: 240C0C82
	v_lshlrev_b32_e32 v7, 2, v7                                // 000000003498: 240E0E82
	buffer_load_dword v13, v6, s[28:31], 0 offen               // 00000000349C: E0501000 80070D06
	buffer_load_dword v14, v7, s[28:31], 0 offen               // 0000000034A4: E0501000 80070E07
	buffer_load_dword v15, v10, s[32:35], 0 offen              // 0000000034AC: E0501000 80080F0A
	buffer_load_dword v16, v11, s[32:35], 0 offen              // 0000000034B4: E0501000 8008100B
	buffer_load_dword v16, v10, s[36:39], 0 offen              // 0000000034BC: E0501000 8009100A
	buffer_load_dword v17, v11, s[36:39], 0 offen              // 0000000034C4: E0501000 8009110B
	buffer_load_dword v17, v8, s[40:43], 0 offen               // 0000000034CC: E0501000 800A1108
	buffer_load_dword v18, v9, s[40:43], 0 offen               // 0000000034D4: E0501000 800A1209
	buffer_load_dword v24, s[20:23], 0 offen lds               // 0000000034DC: E0511000 80050018
	s_add_u32 m0, 0x100, s50                                   // 0000000034E4: 807C32FF 00000100
	buffer_load_dword v25, s[20:23], 0 offen lds               // 0000000034EC: E0511000 80050019
	s_add_u32 m0, 0x200, s50                                   // 0000000034F4: 807C32FF 00000200
	buffer_load_dword v26, s[20:23], 0 offen lds               // 0000000034FC: E0511000 8005001A
	s_add_u32 m0, 0x300, s50                                   // 000000003504: 807C32FF 00000300
	buffer_load_dword v27, s[20:23], 0 offen lds               // 00000000350C: E0511000 8005001B
	s_add_u32 m0, 0x400, s50                                   // 000000003514: 807C32FF 00000400
	buffer_load_dword v28, s[20:23], 0 offen lds               // 00000000351C: E0511000 8005001C
	s_add_u32 m0, 0x500, s50                                   // 000000003524: 807C32FF 00000500
	buffer_load_dword v29, s[20:23], 0 offen lds               // 00000000352C: E0511000 8005001D
	s_add_u32 m0, 0x600, s50                                   // 000000003534: 807C32FF 00000600
	buffer_load_dword v30, s[20:23], 0 offen lds               // 00000000353C: E0511000 8005001E
	s_add_u32 m0, 0x700, s50                                   // 000000003544: 807C32FF 00000700
	buffer_load_dword v31, s[20:23], 0 offen lds               // 00000000354C: E0511000 8005001F
	s_add_u32 m0, 0, s51                                       // 000000003554: 807C3380
	s_add_u32 s20, s57, s20                                    // 000000003558: 80141439
	s_addc_u32 s21, 0, s21                                     // 00000000355C: 82151580
	buffer_load_dword v24, s[20:23], 0 offen lds               // 000000003560: E0511000 80050018
	s_add_u32 m0, 0x100, s51                                   // 000000003568: 807C33FF 00000100
	buffer_load_dword v25, s[20:23], 0 offen lds               // 000000003570: E0511000 80050019
	s_add_u32 m0, 0x200, s51                                   // 000000003578: 807C33FF 00000200
	buffer_load_dword v26, s[20:23], 0 offen lds               // 000000003580: E0511000 8005001A
	s_add_u32 m0, 0x300, s51                                   // 000000003588: 807C33FF 00000300
	buffer_load_dword v27, s[20:23], 0 offen lds               // 000000003590: E0511000 8005001B
	s_add_u32 m0, 0x400, s51                                   // 000000003598: 807C33FF 00000400
	buffer_load_dword v28, s[20:23], 0 offen lds               // 0000000035A0: E0511000 8005001C
	s_add_u32 m0, 0x500, s51                                   // 0000000035A8: 807C33FF 00000500
	buffer_load_dword v29, s[20:23], 0 offen lds               // 0000000035B0: E0511000 8005001D
	s_add_u32 m0, 0x600, s51                                   // 0000000035B8: 807C33FF 00000600
	buffer_load_dword v30, s[20:23], 0 offen lds               // 0000000035C0: E0511000 8005001E
	s_add_u32 m0, 0x700, s51                                   // 0000000035C8: 807C33FF 00000700
	buffer_load_dword v31, s[20:23], 0 offen lds               // 0000000035D0: E0511000 8005001F
	s_add_u32 m0, 0, s50                                       // 0000000035D8: 807C3280
	s_add_u32 s20, s57, s20                                    // 0000000035DC: 80141439
	s_addc_u32 s21, 0, s21                                     // 0000000035E0: 82151580
	buffer_load_dwordx4 a[0:3], v32, s[24:27], 0 offen         // 0000000035E4: E05C1000 80860020
	buffer_load_dwordx4 a[4:7], v32, s[24:27], 0 offen offset:1024// 0000000035EC: E05C1400 80860420
	buffer_load_dwordx4 a[8:11], v32, s[24:27], 0 offen offset:2048// 0000000035F4: E05C1800 80860820
	buffer_load_dwordx4 a[12:15], v32, s[24:27], 0 offen offset:3072// 0000000035FC: E05C1C00 80860C20
	buffer_load_dwordx4 a[16:19], v33, s[24:27], 0 offen       // 000000003604: E05C1000 80861021
	buffer_load_dwordx4 a[20:23], v33, s[24:27], 0 offen offset:1024// 00000000360C: E05C1400 80861421
	buffer_load_dwordx4 a[24:27], v33, s[24:27], 0 offen offset:2048// 000000003614: E05C1800 80861821
	buffer_load_dwordx4 a[28:31], v33, s[24:27], 0 offen offset:3072// 00000000361C: E05C1C00 80861C21
	buffer_load_dwordx4 a[32:35], v34, s[24:27], 0 offen       // 000000003624: E05C1000 80862022
	buffer_load_dwordx4 a[36:39], v34, s[24:27], 0 offen offset:1024// 00000000362C: E05C1400 80862422
	buffer_load_dwordx4 a[40:43], v34, s[24:27], 0 offen offset:2048// 000000003634: E05C1800 80862822
	buffer_load_dwordx4 a[44:47], v34, s[24:27], 0 offen offset:3072// 00000000363C: E05C1C00 80862C22
	s_add_u32 s24, s58, s24                                    // 000000003644: 8018183A
	s_addc_u32 s25, 0, s25                                     // 000000003648: 82191980
	v_mov_b32_e32 v128, 0                                      // 00000000364C: 7F000280
	v_mov_b32_e32 v129, 0                                      // 000000003650: 7F020280
	v_mov_b32_e32 v130, 0                                      // 000000003654: 7F040280
	v_mov_b32_e32 v131, 0                                      // 000000003658: 7F060280
	v_mov_b32_e32 v132, 0                                      // 00000000365C: 7F080280
	v_mov_b32_e32 v133, 0                                      // 000000003660: 7F0A0280
	v_mov_b32_e32 v134, 0                                      // 000000003664: 7F0C0280
	v_mov_b32_e32 v135, 0                                      // 000000003668: 7F0E0280
	v_mov_b32_e32 v136, 0                                      // 00000000366C: 7F100280
	v_mov_b32_e32 v137, 0                                      // 000000003670: 7F120280
	v_mov_b32_e32 v138, 0                                      // 000000003674: 7F140280
	v_mov_b32_e32 v139, 0                                      // 000000003678: 7F160280
	v_mov_b32_e32 v140, 0                                      // 00000000367C: 7F180280
	v_mov_b32_e32 v141, 0                                      // 000000003680: 7F1A0280
	v_mov_b32_e32 v142, 0                                      // 000000003684: 7F1C0280
	v_mov_b32_e32 v143, 0                                      // 000000003688: 7F1E0280
	v_mov_b32_e32 v144, 0                                      // 00000000368C: 7F200280
	v_mov_b32_e32 v145, 0                                      // 000000003690: 7F220280
	v_mov_b32_e32 v146, 0                                      // 000000003694: 7F240280
	v_mov_b32_e32 v147, 0                                      // 000000003698: 7F260280
	v_mov_b32_e32 v148, 0                                      // 00000000369C: 7F280280
	v_mov_b32_e32 v149, 0                                      // 0000000036A0: 7F2A0280
	v_mov_b32_e32 v150, 0                                      // 0000000036A4: 7F2C0280
	v_mov_b32_e32 v151, 0                                      // 0000000036A8: 7F2E0280
	v_lshrrev_b32_e32 v44, 4, v0                               // 0000000036AC: 20580084
	v_mul_i32_i24_e32 v3, 34, v44                              // 0000000036B0: 0C0658A2
	v_and_b32_e32 v44, 15, v0                                  // 0000000036B4: 2658008F
	v_mul_i32_i24_e32 v45, 2, v44                              // 0000000036B8: 0C5A5882
	v_add_u32_e32 v3, v45, v3                                  // 0000000036BC: 6806072D
	s_mul_i32 s60, s7, 0x88                                    // 0000000036C0: 923CFF07 00000088
	v_add_u32_e32 v3, s60, v3                                  // 0000000036C8: 6806063C
	v_lshlrev_b32_e32 v3, 2, v3                                // 0000000036CC: 24060682
	v_lshrrev_b32_e32 v44, 1, v0                               // 0000000036D0: 20580081
	v_mul_i32_i24_e32 v4, 34, v44                              // 0000000036D4: 0C0858A2
	v_and_b32_e32 v45, 1, v0                                   // 0000000036D8: 265A0081
	v_add_u32_e32 v4, v45, v4                                  // 0000000036DC: 6808092D
	s_mul_i32 s60, s7, 2                                       // 0000000036E0: 923C8207
	v_add_u32_e32 v4, s60, v4                                  // 0000000036E4: 6808083C
	v_lshlrev_b32_e32 v4, 2, v4                                // 0000000036E8: 24080882
	s_waitcnt vmcnt(20)                                        // 0000000036EC: BF8C4F74
	s_barrier                                                  // 0000000036F0: BF8A0000
	ds_read_b128 v[152:155], v2                                // 0000000036F4: D9FE0000 98000002
	ds_read_b128 v[156:159], v2 offset:64                      // 0000000036FC: D9FE0040 9C000002
	ds_read_b128 v[160:163], v2 offset:128                     // 000000003704: D9FE0080 A0000002
	ds_read_b128 v[164:167], v2 offset:192                     // 00000000370C: D9FE00C0 A4000002
	ds_read_b128 v[168:171], v2 offset:1024                    // 000000003714: D9FE0400 A8000002
	ds_read_b128 v[172:175], v2 offset:1088                    // 00000000371C: D9FE0440 AC000002
	ds_read_b128 v[176:179], v2 offset:1152                    // 000000003724: D9FE0480 B0000002
	ds_read_b128 v[180:183], v2 offset:1216                    // 00000000372C: D9FE04C0 B4000002
	s_cmp_lt_i32 s7, 2                                         // 000000003734: BF048207
	s_cbranch_scc0 label_0A1C                                  // 000000003738: BF8407CD

000000000000373c <label_024F>:
	s_waitcnt vmcnt(4) lgkmcnt(0)                              // 00000000373C: BF8C0074
	s_barrier                                                  // 000000003740: BF8A0000
	v_mfma_i32_16x16x32_i8 v[128:131], a[0:1], v[152:153], v[128:131]// 000000003744: D3D70080 0E033100
	v_mfma_i32_16x16x32_i8 v[128:131], a[2:3], v[154:155], v[128:131]// 00000000374C: D3D70080 0E033502
	buffer_load_dwordx4 a[48:51], v32, s[24:27], 0 offen       // 000000003754: E05C1000 80863020
	v_mfma_i32_16x16x32_i8 v[128:131], a[4:5], v[156:157], v[128:131]// 00000000375C: D3D70080 0E033904
	v_mfma_i32_16x16x32_i8 v[128:131], a[6:7], v[158:159], v[128:131]// 000000003764: D3D70080 0E033D06
	buffer_load_dword v24, s[20:23], 0 offen lds               // 00000000376C: E0511000 80050018
	s_add_u32 m0, 0x100, s50                                   // 000000003774: 807C32FF 00000100
	v_mfma_i32_16x16x32_i8 v[128:131], a[8:9], v[160:161], v[128:131]// 00000000377C: D3D70080 0E034108
	v_mfma_i32_16x16x32_i8 v[128:131], a[10:11], v[162:163], v[128:131]// 000000003784: D3D70080 0E03450A
	buffer_load_dwordx4 a[52:55], v32, s[24:27], 0 offen offset:1024// 00000000378C: E05C1400 80863420
	v_mfma_i32_16x16x32_i8 v[128:131], a[12:13], v[164:165], v[128:131]// 000000003794: D3D70080 0E03490C
	v_mfma_i32_16x16x32_i8 v[128:131], a[14:15], v[166:167], v[128:131]// 00000000379C: D3D70080 0E034D0E
	buffer_load_dword v25, s[20:23], 0 offen lds               // 0000000037A4: E0511000 80050019
	s_add_u32 m0, 0x200, s50                                   // 0000000037AC: 807C32FF 00000200
	v_mfma_i32_16x16x32_i8 v[132:135], a[0:1], v[168:169], v[132:135]// 0000000037B4: D3D70084 0E135100
	v_mfma_i32_16x16x32_i8 v[132:135], a[2:3], v[170:171], v[132:135]// 0000000037BC: D3D70084 0E135502
	buffer_load_dwordx4 a[56:59], v32, s[24:27], 0 offen offset:2048// 0000000037C4: E05C1800 80863820
	v_mfma_i32_16x16x32_i8 v[132:135], a[4:5], v[172:173], v[132:135]// 0000000037CC: D3D70084 0E135904
	v_mfma_i32_16x16x32_i8 v[132:135], a[6:7], v[174:175], v[132:135]// 0000000037D4: D3D70084 0E135D06
	buffer_load_dword v26, s[20:23], 0 offen lds               // 0000000037DC: E0511000 8005001A
	s_add_u32 m0, 0x300, s50                                   // 0000000037E4: 807C32FF 00000300
	v_mfma_i32_16x16x32_i8 v[132:135], a[8:9], v[176:177], v[132:135]// 0000000037EC: D3D70084 0E136108
	v_mfma_i32_16x16x32_i8 v[132:135], a[10:11], v[178:179], v[132:135]// 0000000037F4: D3D70084 0E13650A
	buffer_load_dwordx4 a[60:63], v32, s[24:27], 0 offen offset:3072// 0000000037FC: E05C1C00 80863C20
	v_mfma_i32_16x16x32_i8 v[132:135], a[12:13], v[180:181], v[132:135]// 000000003804: D3D70084 0E13690C
	v_mfma_i32_16x16x32_i8 v[132:135], a[14:15], v[182:183], v[132:135]// 00000000380C: D3D70084 0E136D0E
	buffer_load_dword v27, s[20:23], 0 offen lds               // 000000003814: E0511000 8005001B
	s_add_u32 m0, 0x400, s50                                   // 00000000381C: 807C32FF 00000400
	v_mfma_i32_16x16x32_i8 v[136:139], a[16:17], v[152:153], v[136:139]// 000000003824: D3D70088 0E233110
	v_mfma_i32_16x16x32_i8 v[136:139], a[18:19], v[154:155], v[136:139]// 00000000382C: D3D70088 0E233512
	buffer_load_dwordx4 a[64:67], v33, s[24:27], 0 offen       // 000000003834: E05C1000 80864021
	v_mfma_i32_16x16x32_i8 v[136:139], a[20:21], v[156:157], v[136:139]// 00000000383C: D3D70088 0E233914
	v_mfma_i32_16x16x32_i8 v[136:139], a[22:23], v[158:159], v[136:139]// 000000003844: D3D70088 0E233D16
	buffer_load_dword v28, s[20:23], 0 offen lds               // 00000000384C: E0511000 8005001C
	s_add_u32 m0, 0x500, s50                                   // 000000003854: 807C32FF 00000500
	ds_read_b128 v[184:187], v2 offset:8320                    // 00000000385C: D9FE2080 B8000002
	v_mfma_i32_16x16x32_i8 v[136:139], a[24:25], v[160:161], v[136:139]// 000000003864: D3D70088 0E234118
	v_mfma_i32_16x16x32_i8 v[136:139], a[26:27], v[162:163], v[136:139]// 00000000386C: D3D70088 0E23451A
	buffer_load_dwordx4 a[68:71], v33, s[24:27], 0 offen offset:1024// 000000003874: E05C1400 80864421
	v_mfma_i32_16x16x32_i8 v[136:139], a[28:29], v[164:165], v[136:139]// 00000000387C: D3D70088 0E23491C
	v_mfma_i32_16x16x32_i8 v[136:139], a[30:31], v[166:167], v[136:139]// 000000003884: D3D70088 0E234D1E
	buffer_load_dword v29, s[20:23], 0 offen lds               // 00000000388C: E0511000 8005001D
	s_add_u32 m0, 0x600, s50                                   // 000000003894: 807C32FF 00000600
	ds_read_b128 v[188:191], v2 offset:8384                    // 00000000389C: D9FE20C0 BC000002
	v_mfma_i32_16x16x32_i8 v[140:143], a[16:17], v[168:169], v[140:143]// 0000000038A4: D3D7008C 0E335110
	v_mfma_i32_16x16x32_i8 v[140:143], a[18:19], v[170:171], v[140:143]// 0000000038AC: D3D7008C 0E335512
	buffer_load_dwordx4 a[72:75], v33, s[24:27], 0 offen offset:2048// 0000000038B4: E05C1800 80864821
	v_mfma_i32_16x16x32_i8 v[140:143], a[20:21], v[172:173], v[140:143]// 0000000038BC: D3D7008C 0E335914
	v_mfma_i32_16x16x32_i8 v[140:143], a[22:23], v[174:175], v[140:143]// 0000000038C4: D3D7008C 0E335D16
	buffer_load_dword v30, s[20:23], 0 offen lds               // 0000000038CC: E0511000 8005001E
	s_add_u32 m0, 0x700, s50                                   // 0000000038D4: 807C32FF 00000700
	ds_read_b128 v[192:195], v2 offset:8448                    // 0000000038DC: D9FE2100 C0000002
	v_mfma_i32_16x16x32_i8 v[140:143], a[24:25], v[176:177], v[140:143]// 0000000038E4: D3D7008C 0E336118
	v_mfma_i32_16x16x32_i8 v[140:143], a[26:27], v[178:179], v[140:143]// 0000000038EC: D3D7008C 0E33651A
	buffer_load_dwordx4 a[76:79], v33, s[24:27], 0 offen offset:3072// 0000000038F4: E05C1C00 80864C21
	v_mfma_i32_16x16x32_i8 v[140:143], a[28:29], v[180:181], v[140:143]// 0000000038FC: D3D7008C 0E33691C
	v_mfma_i32_16x16x32_i8 v[140:143], a[30:31], v[182:183], v[140:143]// 000000003904: D3D7008C 0E336D1E
	buffer_load_dword v31, s[20:23], 0 offen lds               // 00000000390C: E0511000 8005001F
	s_add_u32 m0, 0, s51                                       // 000000003914: 807C3380
	ds_read_b128 v[196:199], v2 offset:8512                    // 000000003918: D9FE2140 C4000002
	s_waitcnt vmcnt(16)                                        // 000000003920: BF8C4F70
	v_mfma_i32_16x16x32_i8 v[144:147], a[32:33], v[152:153], v[144:147]// 000000003924: D3D70090 0E433120
	v_mfma_i32_16x16x32_i8 v[144:147], a[34:35], v[154:155], v[144:147]// 00000000392C: D3D70090 0E433522
	buffer_load_dwordx4 a[80:83], v34, s[24:27], 0 offen       // 000000003934: E05C1000 80865022
	v_mfma_i32_16x16x32_i8 v[144:147], a[36:37], v[156:157], v[144:147]// 00000000393C: D3D70090 0E433924
	v_mfma_i32_16x16x32_i8 v[144:147], a[38:39], v[158:159], v[144:147]// 000000003944: D3D70090 0E433D26
	ds_read_b128 v[200:203], v2 offset:9344                    // 00000000394C: D9FE2480 C8000002
	v_mfma_i32_16x16x32_i8 v[144:147], a[40:41], v[160:161], v[144:147]// 000000003954: D3D70090 0E434128
	v_mfma_i32_16x16x32_i8 v[144:147], a[42:43], v[162:163], v[144:147]// 00000000395C: D3D70090 0E43452A
	buffer_load_dwordx4 a[84:87], v34, s[24:27], 0 offen offset:1024// 000000003964: E05C1400 80865422
	v_mfma_i32_16x16x32_i8 v[144:147], a[44:45], v[164:165], v[144:147]// 00000000396C: D3D70090 0E43492C
	v_mfma_i32_16x16x32_i8 v[144:147], a[46:47], v[166:167], v[144:147]// 000000003974: D3D70090 0E434D2E
	ds_read_b128 v[204:207], v2 offset:9408                    // 00000000397C: D9FE24C0 CC000002
	v_mfma_i32_16x16x32_i8 v[148:151], a[32:33], v[168:169], v[148:151]// 000000003984: D3D70094 0E535120
	v_mfma_i32_16x16x32_i8 v[148:151], a[34:35], v[170:171], v[148:151]// 00000000398C: D3D70094 0E535522
	buffer_load_dwordx4 a[88:91], v34, s[24:27], 0 offen offset:2048// 000000003994: E05C1800 80865822
	v_mfma_i32_16x16x32_i8 v[148:151], a[36:37], v[172:173], v[148:151]// 00000000399C: D3D70094 0E535924
	v_mfma_i32_16x16x32_i8 v[148:151], a[38:39], v[174:175], v[148:151]// 0000000039A4: D3D70094 0E535D26
	ds_read_b128 v[208:211], v2 offset:9472                    // 0000000039AC: D9FE2500 D0000002
	v_mfma_i32_16x16x32_i8 v[148:151], a[40:41], v[176:177], v[148:151]// 0000000039B4: D3D70094 0E536128
	v_mfma_i32_16x16x32_i8 v[148:151], a[42:43], v[178:179], v[148:151]// 0000000039BC: D3D70094 0E53652A
	buffer_load_dwordx4 a[92:95], v34, s[24:27], 0 offen offset:3072// 0000000039C4: E05C1C00 80865C22
	v_mfma_i32_16x16x32_i8 v[148:151], a[44:45], v[180:181], v[148:151]// 0000000039CC: D3D70094 0E53692C
	v_mfma_i32_16x16x32_i8 v[148:151], a[46:47], v[182:183], v[148:151]// 0000000039D4: D3D70094 0E536D2E
	ds_read_b128 v[212:215], v2 offset:9536                    // 0000000039DC: D9FE2540 D4000002
	s_add_u32 s60, 0x300, s80                                  // 0000000039E4: 803C50FF 00000300
	s_cmp_lt_u32 s60, s81                                      // 0000000039EC: BF0A513C
	s_cselect_b32 s57, s57, 0                                  // 0000000039F0: 85398039
	s_add_u32 s60, 0x200, s80                                  // 0000000039F4: 803C50FF 00000200
	s_cmp_lt_u32 s60, s81                                      // 0000000039FC: BF0A513C
	s_cselect_b32 s58, s58, 0                                  // 000000003A00: 853A803A
	s_add_u32 s20, s57, s20                                    // 000000003A04: 80141439
	s_addc_u32 s21, 0, s21                                     // 000000003A08: 82151580
	s_add_u32 s24, s58, s24                                    // 000000003A0C: 8018183A
	s_addc_u32 s25, 0, s25                                     // 000000003A10: 82191980
	s_addk_i32 s80, 0x100                                      // 000000003A14: B7500100
	s_cmp_lt_i32 s80, s81                                      // 000000003A18: BF045150
	s_cbranch_scc0 label_03C2                                  // 000000003A1C: BF8400BA
	s_waitcnt vmcnt(4) lgkmcnt(0)                              // 000000003A20: BF8C0074
	s_barrier                                                  // 000000003A24: BF8A0000
	v_mfma_i32_16x16x32_i8 v[128:131], a[48:49], v[184:185], v[128:131]// 000000003A28: D3D70080 0E037130
	v_mfma_i32_16x16x32_i8 v[128:131], a[50:51], v[186:187], v[128:131]// 000000003A30: D3D70080 0E037532
	buffer_load_dwordx4 a[0:3], v32, s[24:27], 0 offen         // 000000003A38: E05C1000 80860020
	v_mfma_i32_16x16x32_i8 v[128:131], a[52:53], v[188:189], v[128:131]// 000000003A40: D3D70080 0E037934
	v_mfma_i32_16x16x32_i8 v[128:131], a[54:55], v[190:191], v[128:131]// 000000003A48: D3D70080 0E037D36
	buffer_load_dword v24, s[20:23], 0 offen lds               // 000000003A50: E0511000 80050018
	s_add_u32 m0, 0x100, s51                                   // 000000003A58: 807C33FF 00000100
	v_mfma_i32_16x16x32_i8 v[128:131], a[56:57], v[192:193], v[128:131]// 000000003A60: D3D70080 0E038138
	v_mfma_i32_16x16x32_i8 v[128:131], a[58:59], v[194:195], v[128:131]// 000000003A68: D3D70080 0E03853A
	buffer_load_dwordx4 a[4:7], v32, s[24:27], 0 offen offset:1024// 000000003A70: E05C1400 80860420
	v_mfma_i32_16x16x32_i8 v[128:131], a[60:61], v[196:197], v[128:131]// 000000003A78: D3D70080 0E03893C
	v_mfma_i32_16x16x32_i8 v[128:131], a[62:63], v[198:199], v[128:131]// 000000003A80: D3D70080 0E038D3E
	buffer_load_dword v25, s[20:23], 0 offen lds               // 000000003A88: E0511000 80050019
	s_add_u32 m0, 0x200, s51                                   // 000000003A90: 807C33FF 00000200
	v_mfma_i32_16x16x32_i8 v[132:135], a[48:49], v[200:201], v[132:135]// 000000003A98: D3D70084 0E139130
	v_mfma_i32_16x16x32_i8 v[132:135], a[50:51], v[202:203], v[132:135]// 000000003AA0: D3D70084 0E139532
	buffer_load_dwordx4 a[8:11], v32, s[24:27], 0 offen offset:2048// 000000003AA8: E05C1800 80860820
	v_mfma_i32_16x16x32_i8 v[132:135], a[52:53], v[204:205], v[132:135]// 000000003AB0: D3D70084 0E139934
	v_mfma_i32_16x16x32_i8 v[132:135], a[54:55], v[206:207], v[132:135]// 000000003AB8: D3D70084 0E139D36
	buffer_load_dword v26, s[20:23], 0 offen lds               // 000000003AC0: E0511000 8005001A
	s_add_u32 m0, 0x300, s51                                   // 000000003AC8: 807C33FF 00000300
	v_mfma_i32_16x16x32_i8 v[132:135], a[56:57], v[208:209], v[132:135]// 000000003AD0: D3D70084 0E13A138
	v_mfma_i32_16x16x32_i8 v[132:135], a[58:59], v[210:211], v[132:135]// 000000003AD8: D3D70084 0E13A53A
	buffer_load_dwordx4 a[12:15], v32, s[24:27], 0 offen offset:3072// 000000003AE0: E05C1C00 80860C20
	v_mfma_i32_16x16x32_i8 v[132:135], a[60:61], v[212:213], v[132:135]// 000000003AE8: D3D70084 0E13A93C
	v_mfma_i32_16x16x32_i8 v[132:135], a[62:63], v[214:215], v[132:135]// 000000003AF0: D3D70084 0E13AD3E
	buffer_load_dword v27, s[20:23], 0 offen lds               // 000000003AF8: E0511000 8005001B
	s_add_u32 m0, 0x400, s51                                   // 000000003B00: 807C33FF 00000400
	v_mfma_i32_16x16x32_i8 v[136:139], a[64:65], v[184:185], v[136:139]// 000000003B08: D3D70088 0E237140
	v_mfma_i32_16x16x32_i8 v[136:139], a[66:67], v[186:187], v[136:139]// 000000003B10: D3D70088 0E237542
	buffer_load_dwordx4 a[16:19], v33, s[24:27], 0 offen       // 000000003B18: E05C1000 80861021
	v_mfma_i32_16x16x32_i8 v[136:139], a[68:69], v[188:189], v[136:139]// 000000003B20: D3D70088 0E237944
	v_mfma_i32_16x16x32_i8 v[136:139], a[70:71], v[190:191], v[136:139]// 000000003B28: D3D70088 0E237D46
	buffer_load_dword v28, s[20:23], 0 offen lds               // 000000003B30: E0511000 8005001C
	s_add_u32 m0, 0x500, s51                                   // 000000003B38: 807C33FF 00000500
	ds_read_b128 v[152:155], v2                                // 000000003B40: D9FE0000 98000002
	v_mfma_i32_16x16x32_i8 v[136:139], a[72:73], v[192:193], v[136:139]// 000000003B48: D3D70088 0E238148
	v_mfma_i32_16x16x32_i8 v[136:139], a[74:75], v[194:195], v[136:139]// 000000003B50: D3D70088 0E23854A
	buffer_load_dwordx4 a[20:23], v33, s[24:27], 0 offen offset:1024// 000000003B58: E05C1400 80861421
	v_mfma_i32_16x16x32_i8 v[136:139], a[76:77], v[196:197], v[136:139]// 000000003B60: D3D70088 0E23894C
	v_mfma_i32_16x16x32_i8 v[136:139], a[78:79], v[198:199], v[136:139]// 000000003B68: D3D70088 0E238D4E
	buffer_load_dword v29, s[20:23], 0 offen lds               // 000000003B70: E0511000 8005001D
	s_add_u32 m0, 0x600, s51                                   // 000000003B78: 807C33FF 00000600
	ds_read_b128 v[156:159], v2 offset:64                      // 000000003B80: D9FE0040 9C000002
	v_mfma_i32_16x16x32_i8 v[140:143], a[64:65], v[200:201], v[140:143]// 000000003B88: D3D7008C 0E339140
	v_mfma_i32_16x16x32_i8 v[140:143], a[66:67], v[202:203], v[140:143]// 000000003B90: D3D7008C 0E339542
	buffer_load_dwordx4 a[24:27], v33, s[24:27], 0 offen offset:2048// 000000003B98: E05C1800 80861821
	v_mfma_i32_16x16x32_i8 v[140:143], a[68:69], v[204:205], v[140:143]// 000000003BA0: D3D7008C 0E339944
	v_mfma_i32_16x16x32_i8 v[140:143], a[70:71], v[206:207], v[140:143]// 000000003BA8: D3D7008C 0E339D46
	buffer_load_dword v30, s[20:23], 0 offen lds               // 000000003BB0: E0511000 8005001E
	s_add_u32 m0, 0x700, s51                                   // 000000003BB8: 807C33FF 00000700
	ds_read_b128 v[160:163], v2 offset:128                     // 000000003BC0: D9FE0080 A0000002
	v_mfma_i32_16x16x32_i8 v[140:143], a[72:73], v[208:209], v[140:143]// 000000003BC8: D3D7008C 0E33A148
	v_mfma_i32_16x16x32_i8 v[140:143], a[74:75], v[210:211], v[140:143]// 000000003BD0: D3D7008C 0E33A54A
	buffer_load_dwordx4 a[28:31], v33, s[24:27], 0 offen offset:3072// 000000003BD8: E05C1C00 80861C21
	v_mfma_i32_16x16x32_i8 v[140:143], a[76:77], v[212:213], v[140:143]// 000000003BE0: D3D7008C 0E33A94C
	v_mfma_i32_16x16x32_i8 v[140:143], a[78:79], v[214:215], v[140:143]// 000000003BE8: D3D7008C 0E33AD4E
	buffer_load_dword v31, s[20:23], 0 offen lds               // 000000003BF0: E0511000 8005001F
	s_add_u32 m0, 0, s50                                       // 000000003BF8: 807C3280
	ds_read_b128 v[164:167], v2 offset:192                     // 000000003BFC: D9FE00C0 A4000002
	s_waitcnt vmcnt(16)                                        // 000000003C04: BF8C4F70
	v_mfma_i32_16x16x32_i8 v[144:147], a[80:81], v[184:185], v[144:147]// 000000003C08: D3D70090 0E437150
	v_mfma_i32_16x16x32_i8 v[144:147], a[82:83], v[186:187], v[144:147]// 000000003C10: D3D70090 0E437552
	buffer_load_dwordx4 a[32:35], v34, s[24:27], 0 offen       // 000000003C18: E05C1000 80862022
	v_mfma_i32_16x16x32_i8 v[144:147], a[84:85], v[188:189], v[144:147]// 000000003C20: D3D70090 0E437954
	v_mfma_i32_16x16x32_i8 v[144:147], a[86:87], v[190:191], v[144:147]// 000000003C28: D3D70090 0E437D56
	ds_read_b128 v[168:171], v2 offset:1024                    // 000000003C30: D9FE0400 A8000002
	v_mfma_i32_16x16x32_i8 v[144:147], a[88:89], v[192:193], v[144:147]// 000000003C38: D3D70090 0E438158
	v_mfma_i32_16x16x32_i8 v[144:147], a[90:91], v[194:195], v[144:147]// 000000003C40: D3D70090 0E43855A
	buffer_load_dwordx4 a[36:39], v34, s[24:27], 0 offen offset:1024// 000000003C48: E05C1400 80862422
	v_mfma_i32_16x16x32_i8 v[144:147], a[92:93], v[196:197], v[144:147]// 000000003C50: D3D70090 0E43895C
	v_mfma_i32_16x16x32_i8 v[144:147], a[94:95], v[198:199], v[144:147]// 000000003C58: D3D70090 0E438D5E
	ds_read_b128 v[172:175], v2 offset:1088                    // 000000003C60: D9FE0440 AC000002
	v_mfma_i32_16x16x32_i8 v[148:151], a[80:81], v[200:201], v[148:151]// 000000003C68: D3D70094 0E539150
	v_mfma_i32_16x16x32_i8 v[148:151], a[82:83], v[202:203], v[148:151]// 000000003C70: D3D70094 0E539552
	buffer_load_dwordx4 a[40:43], v34, s[24:27], 0 offen offset:2048// 000000003C78: E05C1800 80862822
	v_mfma_i32_16x16x32_i8 v[148:151], a[84:85], v[204:205], v[148:151]// 000000003C80: D3D70094 0E539954
	v_mfma_i32_16x16x32_i8 v[148:151], a[86:87], v[206:207], v[148:151]// 000000003C88: D3D70094 0E539D56
	ds_read_b128 v[176:179], v2 offset:1152                    // 000000003C90: D9FE0480 B0000002
	v_mfma_i32_16x16x32_i8 v[148:151], a[88:89], v[208:209], v[148:151]// 000000003C98: D3D70094 0E53A158
	v_mfma_i32_16x16x32_i8 v[148:151], a[90:91], v[210:211], v[148:151]// 000000003CA0: D3D70094 0E53A55A
	buffer_load_dwordx4 a[44:47], v34, s[24:27], 0 offen offset:3072// 000000003CA8: E05C1C00 80862C22
	v_mfma_i32_16x16x32_i8 v[148:151], a[92:93], v[212:213], v[148:151]// 000000003CB0: D3D70094 0E53A95C
	v_mfma_i32_16x16x32_i8 v[148:151], a[94:95], v[214:215], v[148:151]// 000000003CB8: D3D70094 0E53AD5E
	ds_read_b128 v[180:183], v2 offset:1216                    // 000000003CC0: D9FE04C0 B4000002
	s_add_u32 s60, 0x300, s80                                  // 000000003CC8: 803C50FF 00000300
	s_cmp_lt_u32 s60, s81                                      // 000000003CD0: BF0A513C
	s_cselect_b32 s57, s57, 0                                  // 000000003CD4: 85398039
	s_add_u32 s60, 0x200, s80                                  // 000000003CD8: 803C50FF 00000200
	s_cmp_lt_u32 s60, s81                                      // 000000003CE0: BF0A513C
	s_cselect_b32 s58, s58, 0                                  // 000000003CE4: 853A803A
	s_add_u32 s20, s57, s20                                    // 000000003CE8: 80141439
	s_addc_u32 s21, 0, s21                                     // 000000003CEC: 82151580
	s_add_u32 s24, s58, s24                                    // 000000003CF0: 8018183A
	s_addc_u32 s25, 0, s25                                     // 000000003CF4: 82191980
	s_addk_i32 s80, 0x100                                      // 000000003CF8: B7500100
	s_cmp_lt_i32 s80, s81                                      // 000000003CFC: BF045150
	s_cbranch_scc0 label_03C2                                  // 000000003D00: BF840001
	s_branch label_024F                                        // 000000003D04: BF82FE8D

0000000000003d08 <label_03C2>:
	s_mov_b32 s36, -1                                          // 000000003D08: BEA400C1
	s_mov_b32 s37, -1                                          // 000000003D0C: BEA500C1
	s_mov_b64 s[60:61], 0                                      // 000000003D10: BEBC0180
	s_cmp_lt_u32 s82, s66                                      // 000000003D14: BF0A4252
	s_cselect_b64 s[20:21], s[36:37], s[60:61]                 // 000000003D18: 85943C24
	s_cmp_lt_u32 s83, s66                                      // 000000003D1C: BF0A4253
	s_cselect_b64 s[22:23], s[36:37], s[60:61]                 // 000000003D20: 85963C24
	s_cmp_lt_u32 s84, s66                                      // 000000003D24: BF0A4254
	s_cselect_b64 s[24:25], s[36:37], s[60:61]                 // 000000003D28: 85983C24
	s_cmp_lt_u32 s85, s66                                      // 000000003D2C: BF0A4255
	s_cselect_b64 s[26:27], s[36:37], s[60:61]                 // 000000003D30: 859A3C24
	s_cmp_lt_u32 s86, s66                                      // 000000003D34: BF0A4256
	s_cselect_b64 s[28:29], s[36:37], s[60:61]                 // 000000003D38: 859C3C24
	s_cmp_lt_u32 s87, s66                                      // 000000003D3C: BF0A4257
	s_cselect_b64 s[30:31], s[36:37], s[60:61]                 // 000000003D40: 859E3C24
	s_cmp_lt_u32 s88, s66                                      // 000000003D44: BF0A4258
	s_cselect_b64 s[32:33], s[36:37], s[60:61]                 // 000000003D48: 85A03C24
	s_cmp_lt_u32 s89, s66                                      // 000000003D4C: BF0A4259
	s_cselect_b64 s[34:35], s[36:37], s[60:61]                 // 000000003D50: 85A23C24
	v_cvt_f32_i32_e32 v128, v128                               // 000000003D54: 7F000B80
	v_cvt_f32_i32_e32 v129, v129                               // 000000003D58: 7F020B81
	v_cvt_f32_i32_e32 v130, v130                               // 000000003D5C: 7F040B82
	v_cvt_f32_i32_e32 v131, v131                               // 000000003D60: 7F060B83
	v_mul_f32_e32 v128, v13, v128                              // 000000003D64: 0B01010D
	v_mul_f32_e32 v129, v13, v129                              // 000000003D68: 0B03030D
	v_mul_f32_e32 v130, v13, v130                              // 000000003D6C: 0B05050D
	v_mul_f32_e32 v131, v13, v131                              // 000000003D70: 0B07070D
	v_mul_f32_dpp v128, v15, v128 row_newbcast:0 row_mask:0xf bank_mask:0xf// 000000003D74: 0B0100FA FF01500F
	v_mul_f32_dpp v129, v15, v129 row_newbcast:1 row_mask:0xf bank_mask:0xf// 000000003D7C: 0B0302FA FF01510F
	v_mul_f32_dpp v130, v15, v130 row_newbcast:2 row_mask:0xf bank_mask:0xf// 000000003D84: 0B0504FA FF01520F
	v_mul_f32_dpp v131, v15, v131 row_newbcast:3 row_mask:0xf bank_mask:0xf// 000000003D8C: 0B0706FA FF01530F
	v_cvt_f32_i32_e32 v132, v132                               // 000000003D94: 7F080B84
	v_cvt_f32_i32_e32 v133, v133                               // 000000003D98: 7F0A0B85
	v_cvt_f32_i32_e32 v134, v134                               // 000000003D9C: 7F0C0B86
	v_cvt_f32_i32_e32 v135, v135                               // 000000003DA0: 7F0E0B87
	v_mul_f32_e32 v132, v14, v132                              // 000000003DA4: 0B09090E
	v_mul_f32_e32 v133, v14, v133                              // 000000003DA8: 0B0B0B0E
	v_mul_f32_e32 v134, v14, v134                              // 000000003DAC: 0B0D0D0E
	v_mul_f32_e32 v135, v14, v135                              // 000000003DB0: 0B0F0F0E
	v_mul_f32_dpp v132, v15, v132 row_newbcast:0 row_mask:0xf bank_mask:0xf// 000000003DB4: 0B0908FA FF01500F
	v_mul_f32_dpp v133, v15, v133 row_newbcast:1 row_mask:0xf bank_mask:0xf// 000000003DBC: 0B0B0AFA FF01510F
	v_mul_f32_dpp v134, v15, v134 row_newbcast:2 row_mask:0xf bank_mask:0xf// 000000003DC4: 0B0D0CFA FF01520F
	v_mul_f32_dpp v135, v15, v135 row_newbcast:3 row_mask:0xf bank_mask:0xf// 000000003DCC: 0B0F0EFA FF01530F
	v_cvt_f32_i32_e32 v136, v136                               // 000000003DD4: 7F100B88
	v_cvt_f32_i32_e32 v137, v137                               // 000000003DD8: 7F120B89
	v_cvt_f32_i32_e32 v138, v138                               // 000000003DDC: 7F140B8A
	v_cvt_f32_i32_e32 v139, v139                               // 000000003DE0: 7F160B8B
	v_mul_f32_e32 v136, v13, v136                              // 000000003DE4: 0B11110D
	v_mul_f32_e32 v137, v13, v137                              // 000000003DE8: 0B13130D
	v_mul_f32_e32 v138, v13, v138                              // 000000003DEC: 0B15150D
	v_mul_f32_e32 v139, v13, v139                              // 000000003DF0: 0B17170D
	v_mul_f32_dpp v136, v15, v136 row_newbcast:4 row_mask:0xf bank_mask:0xf// 000000003DF4: 0B1110FA FF01540F
	v_mul_f32_dpp v137, v15, v137 row_newbcast:5 row_mask:0xf bank_mask:0xf// 000000003DFC: 0B1312FA FF01550F
	v_mul_f32_dpp v138, v15, v138 row_newbcast:6 row_mask:0xf bank_mask:0xf// 000000003E04: 0B1514FA FF01560F
	v_mul_f32_dpp v139, v15, v139 row_newbcast:7 row_mask:0xf bank_mask:0xf// 000000003E0C: 0B1716FA FF01570F
	v_cvt_f32_i32_e32 v140, v140                               // 000000003E14: 7F180B8C
	v_cvt_f32_i32_e32 v141, v141                               // 000000003E18: 7F1A0B8D
	v_cvt_f32_i32_e32 v142, v142                               // 000000003E1C: 7F1C0B8E
	v_cvt_f32_i32_e32 v143, v143                               // 000000003E20: 7F1E0B8F
	v_mul_f32_e32 v140, v14, v140                              // 000000003E24: 0B19190E
	v_mul_f32_e32 v141, v14, v141                              // 000000003E28: 0B1B1B0E
	v_mul_f32_e32 v142, v14, v142                              // 000000003E2C: 0B1D1D0E
	v_mul_f32_e32 v143, v14, v143                              // 000000003E30: 0B1F1F0E
	v_mul_f32_dpp v140, v15, v140 row_newbcast:4 row_mask:0xf bank_mask:0xf// 000000003E34: 0B1918FA FF01540F
	v_mul_f32_dpp v141, v15, v141 row_newbcast:5 row_mask:0xf bank_mask:0xf// 000000003E3C: 0B1B1AFA FF01550F
	v_mul_f32_dpp v142, v15, v142 row_newbcast:6 row_mask:0xf bank_mask:0xf// 000000003E44: 0B1D1CFA FF01560F
	v_mul_f32_dpp v143, v15, v143 row_newbcast:7 row_mask:0xf bank_mask:0xf// 000000003E4C: 0B1F1EFA FF01570F
	v_cvt_f32_i32_e32 v144, v144                               // 000000003E54: 7F200B90
	v_cvt_f32_i32_e32 v145, v145                               // 000000003E58: 7F220B91
	v_cvt_f32_i32_e32 v146, v146                               // 000000003E5C: 7F240B92
	v_cvt_f32_i32_e32 v147, v147                               // 000000003E60: 7F260B93
	v_mul_f32_e32 v144, v13, v144                              // 000000003E64: 0B21210D
	v_mul_f32_e32 v145, v13, v145                              // 000000003E68: 0B23230D
	v_mul_f32_e32 v146, v13, v146                              // 000000003E6C: 0B25250D
	v_mul_f32_e32 v147, v13, v147                              // 000000003E70: 0B27270D
	v_mul_f32_dpp v144, v15, v144 row_newbcast:8 row_mask:0xf bank_mask:0xf// 000000003E74: 0B2120FA FF01580F
	v_mul_f32_dpp v145, v15, v145 row_newbcast:9 row_mask:0xf bank_mask:0xf// 000000003E7C: 0B2322FA FF01590F
	v_mul_f32_dpp v146, v15, v146 row_newbcast:10 row_mask:0xf bank_mask:0xf// 000000003E84: 0B2524FA FF015A0F
	v_mul_f32_dpp v147, v15, v147 row_newbcast:11 row_mask:0xf bank_mask:0xf// 000000003E8C: 0B2726FA FF015B0F
	v_cvt_f32_i32_e32 v148, v148                               // 000000003E94: 7F280B94
	v_cvt_f32_i32_e32 v149, v149                               // 000000003E98: 7F2A0B95
	v_cvt_f32_i32_e32 v150, v150                               // 000000003E9C: 7F2C0B96
	v_cvt_f32_i32_e32 v151, v151                               // 000000003EA0: 7F2E0B97
	v_mul_f32_e32 v148, v14, v148                              // 000000003EA4: 0B29290E
	v_mul_f32_e32 v149, v14, v149                              // 000000003EA8: 0B2B2B0E
	v_mul_f32_e32 v150, v14, v150                              // 000000003EAC: 0B2D2D0E
	v_mul_f32_e32 v151, v14, v151                              // 000000003EB0: 0B2F2F0E
	v_mul_f32_dpp v148, v15, v148 row_newbcast:8 row_mask:0xf bank_mask:0xf// 000000003EB4: 0B2928FA FF01580F
	v_mul_f32_dpp v149, v15, v149 row_newbcast:9 row_mask:0xf bank_mask:0xf// 000000003EBC: 0B2B2AFA FF01590F
	v_mul_f32_dpp v150, v15, v150 row_newbcast:10 row_mask:0xf bank_mask:0xf// 000000003EC4: 0B2D2CFA FF015A0F
	v_mul_f32_dpp v151, v15, v151 row_newbcast:11 row_mask:0xf bank_mask:0xf// 000000003ECC: 0B2F2EFA FF015B0F
	s_waitcnt vmcnt(8)                                         // 000000003ED4: BF8C0F78
	buffer_load_dwordx4 a[0:3], v35, s[12:15], 0 offen         // 000000003ED8: E05C1000 80830023
	v_mul_f32_e32 v44, v128, v128                              // 000000003EE0: 0A590180
	v_mul_f32_e32 v45, v129, v129                              // 000000003EE4: 0A5B0381
	v_mul_f32_e32 v46, v130, v130                              // 000000003EE8: 0A5D0582
	v_mul_f32_e32 v47, v131, v131                              // 000000003EEC: 0A5F0783
	v_fma_f32 v44, v44, s77, v1                                // 000000003EF0: D1CB002C 04049B2C
	v_fma_f32 v45, v45, s77, v1                                // 000000003EF8: D1CB002D 04049B2D
	v_fma_f32 v46, v46, s77, v1                                // 000000003F00: D1CB002E 04049B2E
	v_fma_f32 v47, v47, s77, v1                                // 000000003F08: D1CB002F 04049B2F
	v_mul_f32_e32 v44, v44, v128                               // 000000003F10: 0A59012C
	v_mul_f32_e32 v45, v45, v129                               // 000000003F14: 0A5B032D
	v_mul_f32_e32 v46, v46, v130                               // 000000003F18: 0A5D052E
	v_mul_f32_e32 v47, v47, v131                               // 000000003F1C: 0A5F072F
	v_mul_f32_e64 v44, v44, s6                                 // 000000003F20: D105002C 00000D2C
	v_mul_f32_e64 v45, v45, s6                                 // 000000003F28: D105002D 00000D2D
	v_mul_f32_e64 v46, v46, s6                                 // 000000003F30: D105002E 00000D2E
	v_mul_f32_e64 v47, v47, s6                                 // 000000003F38: D105002F 00000D2F
	v_exp_f32_e32 v44, v44                                     // 000000003F40: 7E58412C
	v_exp_f32_e32 v45, v45                                     // 000000003F44: 7E5A412D
	v_exp_f32_e32 v46, v46                                     // 000000003F48: 7E5C412E
	v_exp_f32_e32 v47, v47                                     // 000000003F4C: 7E5E412F
	buffer_load_dwordx4 a[4:7], v36, s[12:15], 0 offen         // 000000003F50: E05C1000 80830424
	v_add_f32_e64 v44, v44, 1.0                                // 000000003F58: D101002C 0001E52C
	v_add_f32_e64 v45, v45, 1.0                                // 000000003F60: D101002D 0001E52D
	v_add_f32_e64 v46, v46, 1.0                                // 000000003F68: D101002E 0001E52E
	v_add_f32_e64 v47, v47, 1.0                                // 000000003F70: D101002F 0001E52F
	v_rcp_f32_e32 v44, v44                                     // 000000003F78: 7E58452C
	v_rcp_f32_e32 v45, v45                                     // 000000003F7C: 7E5A452D
	v_rcp_f32_e32 v46, v46                                     // 000000003F80: 7E5C452E
	v_rcp_f32_e32 v47, v47                                     // 000000003F84: 7E5E452F
	v_mul_f32_e32 v128, v128, v44                              // 000000003F88: 0B005980
	v_mul_f32_e32 v129, v129, v45                              // 000000003F8C: 0B025B81
	v_mul_f32_e32 v130, v130, v46                              // 000000003F90: 0B045D82
	v_mul_f32_e32 v131, v131, v47                              // 000000003F94: 0B065F83
	buffer_load_dwordx4 a[8:11], v37, s[12:15], 0 offen        // 000000003F98: E05C1000 80830825
	v_mul_f32_e32 v44, v132, v132                              // 000000003FA0: 0A590984
	v_mul_f32_e32 v45, v133, v133                              // 000000003FA4: 0A5B0B85
	v_mul_f32_e32 v46, v134, v134                              // 000000003FA8: 0A5D0D86
	v_mul_f32_e32 v47, v135, v135                              // 000000003FAC: 0A5F0F87
	v_fma_f32 v44, v44, s77, v1                                // 000000003FB0: D1CB002C 04049B2C
	v_fma_f32 v45, v45, s77, v1                                // 000000003FB8: D1CB002D 04049B2D
	v_fma_f32 v46, v46, s77, v1                                // 000000003FC0: D1CB002E 04049B2E
	v_fma_f32 v47, v47, s77, v1                                // 000000003FC8: D1CB002F 04049B2F
	v_mul_f32_e32 v44, v44, v132                               // 000000003FD0: 0A59092C
	v_mul_f32_e32 v45, v45, v133                               // 000000003FD4: 0A5B0B2D
	v_mul_f32_e32 v46, v46, v134                               // 000000003FD8: 0A5D0D2E
	v_mul_f32_e32 v47, v47, v135                               // 000000003FDC: 0A5F0F2F
	v_mul_f32_e64 v44, v44, s6                                 // 000000003FE0: D105002C 00000D2C
	v_mul_f32_e64 v45, v45, s6                                 // 000000003FE8: D105002D 00000D2D
	v_mul_f32_e64 v46, v46, s6                                 // 000000003FF0: D105002E 00000D2E
	v_mul_f32_e64 v47, v47, s6                                 // 000000003FF8: D105002F 00000D2F
	v_exp_f32_e32 v44, v44                                     // 000000004000: 7E58412C
	v_exp_f32_e32 v45, v45                                     // 000000004004: 7E5A412D
	v_exp_f32_e32 v46, v46                                     // 000000004008: 7E5C412E
	v_exp_f32_e32 v47, v47                                     // 00000000400C: 7E5E412F
	buffer_load_dwordx4 a[12:15], v38, s[12:15], 0 offen       // 000000004010: E05C1000 80830C26
	s_add_u32 s12, s78, s12                                    // 000000004018: 800C0C4E
	s_addc_u32 s13, 0, s13                                     // 00000000401C: 820D0D80
	v_add_f32_e64 v44, v44, 1.0                                // 000000004020: D101002C 0001E52C
	v_add_f32_e64 v45, v45, 1.0                                // 000000004028: D101002D 0001E52D
	v_add_f32_e64 v46, v46, 1.0                                // 000000004030: D101002E 0001E52E
	v_add_f32_e64 v47, v47, 1.0                                // 000000004038: D101002F 0001E52F
	v_rcp_f32_e32 v44, v44                                     // 000000004040: 7E58452C
	v_rcp_f32_e32 v45, v45                                     // 000000004044: 7E5A452D
	v_rcp_f32_e32 v46, v46                                     // 000000004048: 7E5C452E
	v_rcp_f32_e32 v47, v47                                     // 00000000404C: 7E5E452F
	v_mul_f32_e32 v132, v132, v44                              // 000000004050: 0B085984
	v_mul_f32_e32 v133, v133, v45                              // 000000004054: 0B0A5B85
	v_mul_f32_e32 v134, v134, v46                              // 000000004058: 0B0C5D86
	v_mul_f32_e32 v135, v135, v47                              // 00000000405C: 0B0E5F87
	s_waitcnt vmcnt(8)                                         // 000000004060: BF8C0F78
	buffer_load_dwordx4 a[16:19], v35, s[12:15], 0 offen       // 000000004064: E05C1000 80831023
	v_mul_f32_e32 v44, v136, v136                              // 00000000406C: 0A591188
	v_mul_f32_e32 v45, v137, v137                              // 000000004070: 0A5B1389
	v_mul_f32_e32 v46, v138, v138                              // 000000004074: 0A5D158A
	v_mul_f32_e32 v47, v139, v139                              // 000000004078: 0A5F178B
	v_fma_f32 v44, v44, s77, v1                                // 00000000407C: D1CB002C 04049B2C
	v_fma_f32 v45, v45, s77, v1                                // 000000004084: D1CB002D 04049B2D
	v_fma_f32 v46, v46, s77, v1                                // 00000000408C: D1CB002E 04049B2E
	v_fma_f32 v47, v47, s77, v1                                // 000000004094: D1CB002F 04049B2F
	v_mul_f32_e32 v44, v44, v136                               // 00000000409C: 0A59112C
	v_mul_f32_e32 v45, v45, v137                               // 0000000040A0: 0A5B132D
	v_mul_f32_e32 v46, v46, v138                               // 0000000040A4: 0A5D152E
	v_mul_f32_e32 v47, v47, v139                               // 0000000040A8: 0A5F172F
	v_mul_f32_e64 v44, v44, s6                                 // 0000000040AC: D105002C 00000D2C
	v_mul_f32_e64 v45, v45, s6                                 // 0000000040B4: D105002D 00000D2D
	v_mul_f32_e64 v46, v46, s6                                 // 0000000040BC: D105002E 00000D2E
	v_mul_f32_e64 v47, v47, s6                                 // 0000000040C4: D105002F 00000D2F
	v_exp_f32_e32 v44, v44                                     // 0000000040CC: 7E58412C
	v_exp_f32_e32 v45, v45                                     // 0000000040D0: 7E5A412D
	v_exp_f32_e32 v46, v46                                     // 0000000040D4: 7E5C412E
	v_exp_f32_e32 v47, v47                                     // 0000000040D8: 7E5E412F
	buffer_load_dwordx4 a[20:23], v36, s[12:15], 0 offen       // 0000000040DC: E05C1000 80831424
	v_add_f32_e64 v44, v44, 1.0                                // 0000000040E4: D101002C 0001E52C
	v_add_f32_e64 v45, v45, 1.0                                // 0000000040EC: D101002D 0001E52D
	v_add_f32_e64 v46, v46, 1.0                                // 0000000040F4: D101002E 0001E52E
	v_add_f32_e64 v47, v47, 1.0                                // 0000000040FC: D101002F 0001E52F
	v_rcp_f32_e32 v44, v44                                     // 000000004104: 7E58452C
	v_rcp_f32_e32 v45, v45                                     // 000000004108: 7E5A452D
	v_rcp_f32_e32 v46, v46                                     // 00000000410C: 7E5C452E
	v_rcp_f32_e32 v47, v47                                     // 000000004110: 7E5E452F
	v_mul_f32_e32 v136, v136, v44                              // 000000004114: 0B105988
	v_mul_f32_e32 v137, v137, v45                              // 000000004118: 0B125B89
	v_mul_f32_e32 v138, v138, v46                              // 00000000411C: 0B145D8A
	v_mul_f32_e32 v139, v139, v47                              // 000000004120: 0B165F8B
	buffer_load_dwordx4 a[24:27], v37, s[12:15], 0 offen       // 000000004124: E05C1000 80831825
	v_mul_f32_e32 v44, v140, v140                              // 00000000412C: 0A59198C
	v_mul_f32_e32 v45, v141, v141                              // 000000004130: 0A5B1B8D
	v_mul_f32_e32 v46, v142, v142                              // 000000004134: 0A5D1D8E
	v_mul_f32_e32 v47, v143, v143                              // 000000004138: 0A5F1F8F
	v_fma_f32 v44, v44, s77, v1                                // 00000000413C: D1CB002C 04049B2C
	v_fma_f32 v45, v45, s77, v1                                // 000000004144: D1CB002D 04049B2D
	v_fma_f32 v46, v46, s77, v1                                // 00000000414C: D1CB002E 04049B2E
	v_fma_f32 v47, v47, s77, v1                                // 000000004154: D1CB002F 04049B2F
	v_mul_f32_e32 v44, v44, v140                               // 00000000415C: 0A59192C
	v_mul_f32_e32 v45, v45, v141                               // 000000004160: 0A5B1B2D
	v_mul_f32_e32 v46, v46, v142                               // 000000004164: 0A5D1D2E
	v_mul_f32_e32 v47, v47, v143                               // 000000004168: 0A5F1F2F
	v_mul_f32_e64 v44, v44, s6                                 // 00000000416C: D105002C 00000D2C
	v_mul_f32_e64 v45, v45, s6                                 // 000000004174: D105002D 00000D2D
	v_mul_f32_e64 v46, v46, s6                                 // 00000000417C: D105002E 00000D2E
	v_mul_f32_e64 v47, v47, s6                                 // 000000004184: D105002F 00000D2F
	v_exp_f32_e32 v44, v44                                     // 00000000418C: 7E58412C
	v_exp_f32_e32 v45, v45                                     // 000000004190: 7E5A412D
	v_exp_f32_e32 v46, v46                                     // 000000004194: 7E5C412E
	v_exp_f32_e32 v47, v47                                     // 000000004198: 7E5E412F
	buffer_load_dwordx4 a[28:31], v38, s[12:15], 0 offen       // 00000000419C: E05C1000 80831C26
	s_add_u32 s12, s78, s12                                    // 0000000041A4: 800C0C4E
	s_addc_u32 s13, 0, s13                                     // 0000000041A8: 820D0D80
	v_add_f32_e64 v44, v44, 1.0                                // 0000000041AC: D101002C 0001E52C
	v_add_f32_e64 v45, v45, 1.0                                // 0000000041B4: D101002D 0001E52D
	v_add_f32_e64 v46, v46, 1.0                                // 0000000041BC: D101002E 0001E52E
	v_add_f32_e64 v47, v47, 1.0                                // 0000000041C4: D101002F 0001E52F
	v_rcp_f32_e32 v44, v44                                     // 0000000041CC: 7E58452C
	v_rcp_f32_e32 v45, v45                                     // 0000000041D0: 7E5A452D
	v_rcp_f32_e32 v46, v46                                     // 0000000041D4: 7E5C452E
	v_rcp_f32_e32 v47, v47                                     // 0000000041D8: 7E5E452F
	v_mul_f32_e32 v140, v140, v44                              // 0000000041DC: 0B18598C
	v_mul_f32_e32 v141, v141, v45                              // 0000000041E0: 0B1A5B8D
	v_mul_f32_e32 v142, v142, v46                              // 0000000041E4: 0B1C5D8E
	v_mul_f32_e32 v143, v143, v47                              // 0000000041E8: 0B1E5F8F
	s_waitcnt vmcnt(8)                                         // 0000000041EC: BF8C0F78
	buffer_load_dwordx4 a[32:35], v35, s[12:15], 0 offen       // 0000000041F0: E05C1000 80832023
	v_mul_f32_e32 v44, v144, v144                              // 0000000041F8: 0A592190
	v_mul_f32_e32 v45, v145, v145                              // 0000000041FC: 0A5B2391
	v_mul_f32_e32 v46, v146, v146                              // 000000004200: 0A5D2592
	v_mul_f32_e32 v47, v147, v147                              // 000000004204: 0A5F2793
	v_fma_f32 v44, v44, s77, v1                                // 000000004208: D1CB002C 04049B2C
	v_fma_f32 v45, v45, s77, v1                                // 000000004210: D1CB002D 04049B2D
	v_fma_f32 v46, v46, s77, v1                                // 000000004218: D1CB002E 04049B2E
	v_fma_f32 v47, v47, s77, v1                                // 000000004220: D1CB002F 04049B2F
	v_mul_f32_e32 v44, v44, v144                               // 000000004228: 0A59212C
	v_mul_f32_e32 v45, v45, v145                               // 00000000422C: 0A5B232D
	v_mul_f32_e32 v46, v46, v146                               // 000000004230: 0A5D252E
	v_mul_f32_e32 v47, v47, v147                               // 000000004234: 0A5F272F
	v_mul_f32_e64 v44, v44, s6                                 // 000000004238: D105002C 00000D2C
	v_mul_f32_e64 v45, v45, s6                                 // 000000004240: D105002D 00000D2D
	v_mul_f32_e64 v46, v46, s6                                 // 000000004248: D105002E 00000D2E
	v_mul_f32_e64 v47, v47, s6                                 // 000000004250: D105002F 00000D2F
	v_exp_f32_e32 v44, v44                                     // 000000004258: 7E58412C
	v_exp_f32_e32 v45, v45                                     // 00000000425C: 7E5A412D
	v_exp_f32_e32 v46, v46                                     // 000000004260: 7E5C412E
	v_exp_f32_e32 v47, v47                                     // 000000004264: 7E5E412F
	buffer_load_dwordx4 a[36:39], v36, s[12:15], 0 offen       // 000000004268: E05C1000 80832424
	v_add_f32_e64 v44, v44, 1.0                                // 000000004270: D101002C 0001E52C
	v_add_f32_e64 v45, v45, 1.0                                // 000000004278: D101002D 0001E52D
	v_add_f32_e64 v46, v46, 1.0                                // 000000004280: D101002E 0001E52E
	v_add_f32_e64 v47, v47, 1.0                                // 000000004288: D101002F 0001E52F
	v_rcp_f32_e32 v44, v44                                     // 000000004290: 7E58452C
	v_rcp_f32_e32 v45, v45                                     // 000000004294: 7E5A452D
	v_rcp_f32_e32 v46, v46                                     // 000000004298: 7E5C452E
	v_rcp_f32_e32 v47, v47                                     // 00000000429C: 7E5E452F
	v_mul_f32_e32 v144, v144, v44                              // 0000000042A0: 0B205990
	v_mul_f32_e32 v145, v145, v45                              // 0000000042A4: 0B225B91
	v_mul_f32_e32 v146, v146, v46                              // 0000000042A8: 0B245D92
	v_mul_f32_e32 v147, v147, v47                              // 0000000042AC: 0B265F93
	buffer_load_dwordx4 a[40:43], v37, s[12:15], 0 offen       // 0000000042B0: E05C1000 80832825
	v_mul_f32_e32 v44, v148, v148                              // 0000000042B8: 0A592994
	v_mul_f32_e32 v45, v149, v149                              // 0000000042BC: 0A5B2B95
	v_mul_f32_e32 v46, v150, v150                              // 0000000042C0: 0A5D2D96
	v_mul_f32_e32 v47, v151, v151                              // 0000000042C4: 0A5F2F97
	v_fma_f32 v44, v44, s77, v1                                // 0000000042C8: D1CB002C 04049B2C
	v_fma_f32 v45, v45, s77, v1                                // 0000000042D0: D1CB002D 04049B2D
	v_fma_f32 v46, v46, s77, v1                                // 0000000042D8: D1CB002E 04049B2E
	v_fma_f32 v47, v47, s77, v1                                // 0000000042E0: D1CB002F 04049B2F
	v_mul_f32_e32 v44, v44, v148                               // 0000000042E8: 0A59292C
	v_mul_f32_e32 v45, v45, v149                               // 0000000042EC: 0A5B2B2D
	v_mul_f32_e32 v46, v46, v150                               // 0000000042F0: 0A5D2D2E
	v_mul_f32_e32 v47, v47, v151                               // 0000000042F4: 0A5F2F2F
	v_mul_f32_e64 v44, v44, s6                                 // 0000000042F8: D105002C 00000D2C
	v_mul_f32_e64 v45, v45, s6                                 // 000000004300: D105002D 00000D2D
	v_mul_f32_e64 v46, v46, s6                                 // 000000004308: D105002E 00000D2E
	v_mul_f32_e64 v47, v47, s6                                 // 000000004310: D105002F 00000D2F
	v_exp_f32_e32 v44, v44                                     // 000000004318: 7E58412C
	v_exp_f32_e32 v45, v45                                     // 00000000431C: 7E5A412D
	v_exp_f32_e32 v46, v46                                     // 000000004320: 7E5C412E
	v_exp_f32_e32 v47, v47                                     // 000000004324: 7E5E412F
	buffer_load_dwordx4 a[44:47], v38, s[12:15], 0 offen       // 000000004328: E05C1000 80832C26
	v_add_f32_e64 v44, v44, 1.0                                // 000000004330: D101002C 0001E52C
	v_add_f32_e64 v45, v45, 1.0                                // 000000004338: D101002D 0001E52D
	v_add_f32_e64 v46, v46, 1.0                                // 000000004340: D101002E 0001E52E
	v_add_f32_e64 v47, v47, 1.0                                // 000000004348: D101002F 0001E52F
	v_rcp_f32_e32 v44, v44                                     // 000000004350: 7E58452C
	v_rcp_f32_e32 v45, v45                                     // 000000004354: 7E5A452D
	v_rcp_f32_e32 v46, v46                                     // 000000004358: 7E5C452E
	v_rcp_f32_e32 v47, v47                                     // 00000000435C: 7E5E452F
	v_mul_f32_e32 v148, v148, v44                              // 000000004360: 0B285994
	v_mul_f32_e32 v149, v149, v45                              // 000000004364: 0B2A5B95
	v_mul_f32_e32 v150, v150, v46                              // 000000004368: 0B2C5D96
	v_mul_f32_e32 v151, v151, v47                              // 00000000436C: 0B2E5F97
	v_mul_f32_dpp v128, v16, v128 row_newbcast:0 row_mask:0xf bank_mask:0xf// 000000004370: 0B0100FA FF015010
	v_mul_f32_dpp v129, v16, v129 row_newbcast:1 row_mask:0xf bank_mask:0xf// 000000004378: 0B0302FA FF015110
	v_mul_f32_dpp v130, v16, v130 row_newbcast:2 row_mask:0xf bank_mask:0xf// 000000004380: 0B0504FA FF015210
	v_mul_f32_dpp v131, v16, v131 row_newbcast:3 row_mask:0xf bank_mask:0xf// 000000004388: 0B0706FA FF015310
	v_mul_f32_dpp v132, v16, v132 row_newbcast:0 row_mask:0xf bank_mask:0xf// 000000004390: 0B0908FA FF015010
	v_mul_f32_dpp v133, v16, v133 row_newbcast:1 row_mask:0xf bank_mask:0xf// 000000004398: 0B0B0AFA FF015110
	v_mul_f32_dpp v134, v16, v134 row_newbcast:2 row_mask:0xf bank_mask:0xf// 0000000043A0: 0B0D0CFA FF015210
	v_mul_f32_dpp v135, v16, v135 row_newbcast:3 row_mask:0xf bank_mask:0xf// 0000000043A8: 0B0F0EFA FF015310
	v_mul_f32_dpp v136, v16, v136 row_newbcast:4 row_mask:0xf bank_mask:0xf// 0000000043B0: 0B1110FA FF015410
	v_mul_f32_dpp v137, v16, v137 row_newbcast:5 row_mask:0xf bank_mask:0xf// 0000000043B8: 0B1312FA FF015510
	v_mul_f32_dpp v138, v16, v138 row_newbcast:6 row_mask:0xf bank_mask:0xf// 0000000043C0: 0B1514FA FF015610
	v_mul_f32_dpp v139, v16, v139 row_newbcast:7 row_mask:0xf bank_mask:0xf// 0000000043C8: 0B1716FA FF015710
	v_mul_f32_dpp v140, v16, v140 row_newbcast:4 row_mask:0xf bank_mask:0xf// 0000000043D0: 0B1918FA FF015410
	v_mul_f32_dpp v141, v16, v141 row_newbcast:5 row_mask:0xf bank_mask:0xf// 0000000043D8: 0B1B1AFA FF015510
	v_mul_f32_dpp v142, v16, v142 row_newbcast:6 row_mask:0xf bank_mask:0xf// 0000000043E0: 0B1D1CFA FF015610
	v_mul_f32_dpp v143, v16, v143 row_newbcast:7 row_mask:0xf bank_mask:0xf// 0000000043E8: 0B1F1EFA FF015710
	v_mul_f32_dpp v144, v16, v144 row_newbcast:8 row_mask:0xf bank_mask:0xf// 0000000043F0: 0B2120FA FF015810
	v_mul_f32_dpp v145, v16, v145 row_newbcast:9 row_mask:0xf bank_mask:0xf// 0000000043F8: 0B2322FA FF015910
	v_mul_f32_dpp v146, v16, v146 row_newbcast:10 row_mask:0xf bank_mask:0xf// 000000004400: 0B2524FA FF015A10
	v_mul_f32_dpp v147, v16, v147 row_newbcast:11 row_mask:0xf bank_mask:0xf// 000000004408: 0B2726FA FF015B10
	v_mul_f32_dpp v148, v16, v148 row_newbcast:8 row_mask:0xf bank_mask:0xf// 000000004410: 0B2928FA FF015810
	v_mul_f32_dpp v149, v16, v149 row_newbcast:9 row_mask:0xf bank_mask:0xf// 000000004418: 0B2B2AFA FF015910
	v_mul_f32_dpp v150, v16, v150 row_newbcast:10 row_mask:0xf bank_mask:0xf// 000000004420: 0B2D2CFA FF015A10
	v_mul_f32_dpp v151, v16, v151 row_newbcast:11 row_mask:0xf bank_mask:0xf// 000000004428: 0B2F2EFA FF015B10
	buffer_load_dword v11, v5, s[16:19], 0 offen               // 000000004430: E0501000 80040B05
	v_mov_b32_e32 v20, 0x358637bd                              // 000000004438: 7E2802FF 358637BD
	v_mov_b32_e32 v21, 0x358637bd                              // 000000004440: 7E2A02FF 358637BD
	v_max3_f32 v20, |v128|, |v129|, v20                        // 000000004448: D1D30314 04530380
	v_max3_f32 v20, |v130|, |v131|, v20                        // 000000004450: D1D30314 04530782
	v_max3_f32 v21, |v132|, |v133|, v21                        // 000000004458: D1D30315 04570B84
	v_max3_f32 v21, |v134|, |v135|, v21                        // 000000004460: D1D30315 04570F86
	v_max3_f32 v20, |v136|, |v137|, v20                        // 000000004468: D1D30314 04531388
	v_max3_f32 v20, |v138|, |v139|, v20                        // 000000004470: D1D30314 0453178A
	v_max3_f32 v21, |v140|, |v141|, v21                        // 000000004478: D1D30315 04571B8C
	v_max3_f32 v21, |v142|, |v143|, v21                        // 000000004480: D1D30315 04571F8E
	v_max3_f32 v20, |v144|, |v145|, v20                        // 000000004488: D1D30314 04532390
	v_max3_f32 v20, |v146|, |v147|, v20                        // 000000004490: D1D30314 04532792
	v_max3_f32 v21, |v148|, |v149|, v21                        // 000000004498: D1D30315 04572B94
	v_max3_f32 v21, |v150|, |v151|, v21                        // 0000000044A0: D1D30315 04572F96
	v_lshlrev_b32_e32 v44, 3, v0                               // 0000000044A8: 24580083
	s_mul_i32 s60, 0x200, s7                                   // 0000000044AC: 923C07FF 00000200
	v_add_u32_e32 v44, s60, v44                                // 0000000044B4: 6858583C
	ds_write_b64 v44, v[20:21] offset:16640                    // 0000000044B8: D89A4100 0000142C
	s_waitcnt lgkmcnt(0)                                       // 0000000044C0: BF8CC07F
	s_barrier                                                  // 0000000044C4: BF8A0000
	v_and_b32_e32 v44, 15, v0                                  // 0000000044C8: 2658008F
	v_lshlrev_b32_e32 v44, 3, v44                              // 0000000044CC: 24585883
	ds_read_b64 v[96:97], v44 offset:16640                     // 0000000044D0: D8EC4100 6000002C
	ds_read_b64 v[98:99], v44 offset:16768                     // 0000000044D8: D8EC4180 6200002C
	ds_read_b64 v[100:101], v44 offset:16896                   // 0000000044E0: D8EC4200 6400002C
	ds_read_b64 v[102:103], v44 offset:17024                   // 0000000044E8: D8EC4280 6600002C
	ds_read_b64 v[104:105], v44 offset:17152                   // 0000000044F0: D8EC4300 6800002C
	ds_read_b64 v[106:107], v44 offset:17280                   // 0000000044F8: D8EC4380 6A00002C
	ds_read_b64 v[108:109], v44 offset:17408                   // 000000004500: D8EC4400 6C00002C
	ds_read_b64 v[110:111], v44 offset:17536                   // 000000004508: D8EC4480 6E00002C
	ds_read_b64 v[112:113], v44 offset:17664                   // 000000004510: D8EC4500 7000002C
	ds_read_b64 v[114:115], v44 offset:17792                   // 000000004518: D8EC4580 7200002C
	ds_read_b64 v[116:117], v44 offset:17920                   // 000000004520: D8EC4600 7400002C
	ds_read_b64 v[118:119], v44 offset:18048                   // 000000004528: D8EC4680 7600002C
	ds_read_b64 v[120:121], v44 offset:18176                   // 000000004530: D8EC4700 7800002C
	ds_read_b64 v[122:123], v44 offset:18304                   // 000000004538: D8EC4780 7A00002C
	ds_read_b64 v[124:125], v44 offset:18432                   // 000000004540: D8EC4800 7C00002C
	ds_read_b64 v[126:127], v44 offset:18560                   // 000000004548: D8EC4880 7E00002C
	s_waitcnt lgkmcnt(0)                                       // 000000004550: BF8CC07F
	v_max3_f32 v20, |v96|, |v98|, v20                          // 000000004554: D1D30314 0452C560
	v_max3_f32 v21, |v97|, |v99|, v21                          // 00000000455C: D1D30315 0456C761
	v_max3_f32 v20, |v100|, |v102|, v20                        // 000000004564: D1D30314 0452CD64
	v_max3_f32 v21, |v101|, |v103|, v21                        // 00000000456C: D1D30315 0456CF65
	v_max3_f32 v20, |v104|, |v106|, v20                        // 000000004574: D1D30314 0452D568
	v_max3_f32 v21, |v105|, |v107|, v21                        // 00000000457C: D1D30315 0456D769
	v_max3_f32 v20, |v108|, |v110|, v20                        // 000000004584: D1D30314 0452DD6C
	v_max3_f32 v21, |v109|, |v111|, v21                        // 00000000458C: D1D30315 0456DF6D
	v_max3_f32 v20, |v112|, |v114|, v20                        // 000000004594: D1D30314 0452E570
	v_max3_f32 v21, |v113|, |v115|, v21                        // 00000000459C: D1D30315 0456E771
	v_max3_f32 v20, |v116|, |v118|, v20                        // 0000000045A4: D1D30314 0452ED74
	v_max3_f32 v21, |v117|, |v119|, v21                        // 0000000045AC: D1D30315 0456EF75
	v_max3_f32 v20, |v120|, |v122|, v20                        // 0000000045B4: D1D30314 0452F578
	v_max3_f32 v21, |v121|, |v123|, v21                        // 0000000045BC: D1D30315 0456F779
	v_max3_f32 v20, |v124|, |v126|, v20                        // 0000000045C4: D1D30314 0452FD7C
	v_max3_f32 v21, |v125|, |v127|, v21                        // 0000000045CC: D1D30315 0456FF7D
	v_rcp_f32_e32 v20, v20                                     // 0000000045D4: 7E284514
	v_rcp_f32_e32 v21, v21                                     // 0000000045D8: 7E2A4515
	v_mul_f32_e32 v20, 0x42fe0000, v20                         // 0000000045DC: 0A2828FF 42FE0000
	v_mul_f32_e32 v21, 0x42fe0000, v21                         // 0000000045E4: 0A2A2AFF 42FE0000
	v_mul_f32_e32 v128, v20, v128                              // 0000000045EC: 0B010114
	v_mul_f32_e32 v129, v20, v129                              // 0000000045F0: 0B030314
	v_mul_f32_e32 v130, v20, v130                              // 0000000045F4: 0B050514
	v_mul_f32_e32 v131, v20, v131                              // 0000000045F8: 0B070714
	v_cvt_i32_f32_e32 v128, v128                               // 0000000045FC: 7F001180
	v_cvt_i32_f32_e32 v129, v129                               // 000000004600: 7F021181
	v_cvt_i32_f32_e32 v130, v130                               // 000000004604: 7F041182
	v_cvt_i32_f32_e32 v131, v131                               // 000000004608: 7F061183
	v_perm_b32 v128, v129, v128, s53                           // 00000000460C: D1ED0080 00D70181
	v_perm_b32 v128, v130, v128, s54                           // 000000004614: D1ED0080 00DB0182
	v_perm_b32 v128, v131, v128, s55                           // 00000000461C: D1ED0080 00DF0183
	v_mul_f32_e32 v132, v21, v132                              // 000000004624: 0B090915
	v_mul_f32_e32 v133, v21, v133                              // 000000004628: 0B0B0B15
	v_mul_f32_e32 v134, v21, v134                              // 00000000462C: 0B0D0D15
	v_mul_f32_e32 v135, v21, v135                              // 000000004630: 0B0F0F15
	v_cvt_i32_f32_e32 v132, v132                               // 000000004634: 7F081184
	v_cvt_i32_f32_e32 v133, v133                               // 000000004638: 7F0A1185
	v_cvt_i32_f32_e32 v134, v134                               // 00000000463C: 7F0C1186
	v_cvt_i32_f32_e32 v135, v135                               // 000000004640: 7F0E1187
	v_perm_b32 v129, v133, v132, s53                           // 000000004644: D1ED0081 00D70985
	v_perm_b32 v129, v134, v129, s54                           // 00000000464C: D1ED0081 00DB0386
	v_perm_b32 v129, v135, v129, s55                           // 000000004654: D1ED0081 00DF0387
	v_mul_f32_e32 v136, v20, v136                              // 00000000465C: 0B111114
	v_mul_f32_e32 v137, v20, v137                              // 000000004660: 0B131314
	v_mul_f32_e32 v138, v20, v138                              // 000000004664: 0B151514
	v_mul_f32_e32 v139, v20, v139                              // 000000004668: 0B171714
	v_cvt_i32_f32_e32 v136, v136                               // 00000000466C: 7F101188
	v_cvt_i32_f32_e32 v137, v137                               // 000000004670: 7F121189
	v_cvt_i32_f32_e32 v138, v138                               // 000000004674: 7F14118A
	v_cvt_i32_f32_e32 v139, v139                               // 000000004678: 7F16118B
	v_perm_b32 v130, v137, v136, s53                           // 00000000467C: D1ED0082 00D71189
	v_perm_b32 v130, v138, v130, s54                           // 000000004684: D1ED0082 00DB058A
	v_perm_b32 v130, v139, v130, s55                           // 00000000468C: D1ED0082 00DF058B
	v_mul_f32_e32 v140, v21, v140                              // 000000004694: 0B191915
	v_mul_f32_e32 v141, v21, v141                              // 000000004698: 0B1B1B15
	v_mul_f32_e32 v142, v21, v142                              // 00000000469C: 0B1D1D15
	v_mul_f32_e32 v143, v21, v143                              // 0000000046A0: 0B1F1F15
	v_cvt_i32_f32_e32 v140, v140                               // 0000000046A4: 7F18118C
	v_cvt_i32_f32_e32 v141, v141                               // 0000000046A8: 7F1A118D
	v_cvt_i32_f32_e32 v142, v142                               // 0000000046AC: 7F1C118E
	v_cvt_i32_f32_e32 v143, v143                               // 0000000046B0: 7F1E118F
	v_perm_b32 v131, v141, v140, s53                           // 0000000046B4: D1ED0083 00D7198D
	v_perm_b32 v131, v142, v131, s54                           // 0000000046BC: D1ED0083 00DB078E
	v_perm_b32 v131, v143, v131, s55                           // 0000000046C4: D1ED0083 00DF078F
	v_mul_f32_e32 v144, v20, v144                              // 0000000046CC: 0B212114
	v_mul_f32_e32 v145, v20, v145                              // 0000000046D0: 0B232314
	v_mul_f32_e32 v146, v20, v146                              // 0000000046D4: 0B252514
	v_mul_f32_e32 v147, v20, v147                              // 0000000046D8: 0B272714
	v_cvt_i32_f32_e32 v144, v144                               // 0000000046DC: 7F201190
	v_cvt_i32_f32_e32 v145, v145                               // 0000000046E0: 7F221191
	v_cvt_i32_f32_e32 v146, v146                               // 0000000046E4: 7F241192
	v_cvt_i32_f32_e32 v147, v147                               // 0000000046E8: 7F261193
	v_perm_b32 v132, v145, v144, s53                           // 0000000046EC: D1ED0084 00D72191
	v_perm_b32 v132, v146, v132, s54                           // 0000000046F4: D1ED0084 00DB0992
	v_perm_b32 v132, v147, v132, s55                           // 0000000046FC: D1ED0084 00DF0993
	v_mul_f32_e32 v148, v21, v148                              // 000000004704: 0B292915
	v_mul_f32_e32 v149, v21, v149                              // 000000004708: 0B2B2B15
	v_mul_f32_e32 v150, v21, v150                              // 00000000470C: 0B2D2D15
	v_mul_f32_e32 v151, v21, v151                              // 000000004710: 0B2F2F15
	v_cvt_i32_f32_e32 v148, v148                               // 000000004714: 7F281194
	v_cvt_i32_f32_e32 v149, v149                               // 000000004718: 7F2A1195
	v_cvt_i32_f32_e32 v150, v150                               // 00000000471C: 7F2C1196
	v_cvt_i32_f32_e32 v151, v151                               // 000000004720: 7F2E1197
	v_perm_b32 v133, v149, v148, s53                           // 000000004724: D1ED0085 00D72995
	v_perm_b32 v133, v150, v133, s54                           // 00000000472C: D1ED0085 00DB0B96
	v_perm_b32 v133, v151, v133, s55                           // 000000004734: D1ED0085 00DF0B97
	v_rcp_f32_e32 v22, v20                                     // 00000000473C: 7E2C4514
	v_rcp_f32_e32 v23, v21                                     // 000000004740: 7E2E4515
	v_lshrrev_b32_e32 v44, 5, v0                               // 000000004744: 20580085
	v_lshlrev_b32_e32 v45, 5, v44                              // 000000004748: 245A5885
	v_and_b32_e32 v44, 31, v0                                  // 00000000474C: 2658009F
	v_lshrrev_b32_e32 v46, 4, v44                              // 000000004750: 205C5884
	v_add_u32_e32 v45, v46, v45                                // 000000004754: 685A5B2E
	v_and_b32_e32 v44, 15, v0                                  // 000000004758: 2658008F
	v_lshlrev_b32_e32 v44, 1, v44                              // 00000000475C: 24585881
	v_add_u32_e32 v45, v44, v45                                // 000000004760: 685A5B2C
	v_lshlrev_b32_e32 v44, 2, v45                              // 000000004764: 24585A82
	s_mul_i32 s60, 0x100, s7                                   // 000000004768: 923C07FF 00000100
	v_add_u32_e64 v44, v44, s60                                // 000000004770: D134002C 0000792C
	ds_write_b32 v44, v128 offset:18688                        // 000000004778: D81A4900 0000802C
	ds_write_b32 v44, v129 offset:21760                        // 000000004780: D81A5500 0000812C
	ds_write_b32 v44, v130 offset:19712                        // 000000004788: D81A4D00 0000822C
	ds_write_b32 v44, v131 offset:22784                        // 000000004790: D81A5900 0000832C
	ds_write_b32 v44, v132 offset:20736                        // 000000004798: D81A5100 0000842C
	ds_write_b32 v44, v133 offset:23808                        // 0000000047A0: D81A5D00 0000852C
	s_waitcnt lgkmcnt(0)                                       // 0000000047A8: BF8CC07F
	s_barrier                                                  // 0000000047AC: BF8A0000
	v_lshrrev_b32_e32 v44, 4, v0                               // 0000000047B0: 20580084
	v_lshlrev_b32_e32 v45, 6, v44                              // 0000000047B4: 245A5886
	v_and_b32_e32 v44, 15, v0                                  // 0000000047B8: 2658008F
	v_lshlrev_b32_e32 v44, 1, v44                              // 0000000047BC: 24585881
	v_add_u32_e32 v45, v44, v45                                // 0000000047C0: 685A5B2C
	v_lshlrev_b32_e32 v44, 2, v45                              // 0000000047C4: 24585A82
	ds_read_b64 v[128:129], v44 offset:18688                   // 0000000047C8: D8EC4900 8000002C
	ds_read_b64 v[130:131], v44 offset:18816                   // 0000000047D0: D8EC4980 8200002C
	ds_read_b64 v[132:133], v44 offset:19712                   // 0000000047D8: D8EC4D00 8400002C
	ds_read_b64 v[134:135], v44 offset:19840                   // 0000000047E0: D8EC4D80 8600002C
	ds_read_b64 v[136:137], v44 offset:20736                   // 0000000047E8: D8EC5100 8800002C
	ds_read_b64 v[138:139], v44 offset:20864                   // 0000000047F0: D8EC5180 8A00002C
	ds_read_b64 v[140:141], v44 offset:21760                   // 0000000047F8: D8EC5500 8C00002C
	ds_read_b64 v[142:143], v44 offset:21888                   // 000000004800: D8EC5580 8E00002C
	ds_read_b64 v[144:145], v44 offset:22784                   // 000000004808: D8EC5900 9000002C
	ds_read_b64 v[146:147], v44 offset:22912                   // 000000004810: D8EC5980 9200002C
	ds_read_b64 v[148:149], v44 offset:23808                   // 000000004818: D8EC5D00 9400002C
	ds_read_b64 v[150:151], v44 offset:23936                   // 000000004820: D8EC5D80 9600002C
	s_add_u32 s12, s56, s12                                    // 000000004828: 800C0C38
	s_addc_u32 s13, 0, s13                                     // 00000000482C: 820D0D80
	s_add_u32 s16, s79, s16                                    // 000000004830: 8010104F
	s_addc_u32 s17, 0, s17                                     // 000000004834: 82111180
	s_mov_b32 s80, 0                                           // 000000004838: BED00080
	s_waitcnt vmcnt(0) expcnt(0) lgkmcnt(0)                    // 00000000483C: BF8C0000

0000000000004840 <label_0690>:
	s_waitcnt vmcnt(25)                                        // 000000004840: BF8C4F79
	s_barrier                                                  // 000000004844: BF8A0000
	v_mfma_i32_16x16x32_i8 v[152:155], a[0:1], v[128:129], 0   // 000000004848: D3D70098 0A030100
	v_mfma_i32_16x16x32_i8 v[152:155], a[2:3], v[130:131], v[152:155]// 000000004850: D3D70098 0E630502
	buffer_load_dwordx4 a[48:51], v35, s[12:15], 0 offen       // 000000004858: E05C1000 80833023
	v_mfma_i32_16x16x32_i8 v[156:159], a[0:1], v[140:141], 0   // 000000004860: D3D7009C 0A031900
	v_mfma_i32_16x16x32_i8 v[156:159], a[2:3], v[142:143], v[156:159]// 000000004868: D3D7009C 0E731D02
	v_mfma_i32_16x16x32_i8 v[160:163], a[4:5], v[128:129], 0   // 000000004870: D3D700A0 0A030104
	v_mfma_i32_16x16x32_i8 v[160:163], a[6:7], v[130:131], v[160:163]// 000000004878: D3D700A0 0E830506
	buffer_load_dwordx4 a[52:55], v36, s[12:15], 0 offen       // 000000004880: E05C1000 80833424
	v_mfma_i32_16x16x32_i8 v[164:167], a[4:5], v[140:141], 0   // 000000004888: D3D700A4 0A031904
	v_mfma_i32_16x16x32_i8 v[164:167], a[6:7], v[142:143], v[164:167]// 000000004890: D3D700A4 0E931D06
	v_mfma_i32_16x16x32_i8 v[168:171], a[8:9], v[128:129], 0   // 000000004898: D3D700A8 0A030108
	v_mfma_i32_16x16x32_i8 v[168:171], a[10:11], v[130:131], v[168:171]// 0000000048A0: D3D700A8 0EA3050A
	buffer_load_dwordx4 a[56:59], v37, s[12:15], 0 offen       // 0000000048A8: E05C1000 80833825
	v_mfma_i32_16x16x32_i8 v[172:175], a[8:9], v[140:141], 0   // 0000000048B0: D3D700AC 0A031908
	v_mfma_i32_16x16x32_i8 v[172:175], a[10:11], v[142:143], v[172:175]// 0000000048B8: D3D700AC 0EB31D0A
	v_mfma_i32_16x16x32_i8 v[176:179], a[12:13], v[128:129], 0 // 0000000048C0: D3D700B0 0A03010C
	v_mfma_i32_16x16x32_i8 v[176:179], a[14:15], v[130:131], v[176:179]// 0000000048C8: D3D700B0 0EC3050E
	buffer_load_dwordx4 a[60:63], v38, s[12:15], 0 offen       // 0000000048D0: E05C1000 80833C26
	s_add_u32 s12, s78, s12                                    // 0000000048D8: 800C0C4E
	s_addc_u32 s13, 0, s13                                     // 0000000048DC: 820D0D80
	v_mfma_i32_16x16x32_i8 v[180:183], a[12:13], v[140:141], 0 // 0000000048E0: D3D700B4 0A03190C
	v_mfma_i32_16x16x32_i8 v[180:183], a[14:15], v[142:143], v[180:183]// 0000000048E8: D3D700B4 0ED31D0E
	s_waitcnt vmcnt(25)                                        // 0000000048F0: BF8C4F79
	v_mfma_i32_16x16x32_i8 v[152:155], a[16:17], v[132:133], v[152:155]// 0000000048F4: D3D70098 0E630910
	v_mfma_i32_16x16x32_i8 v[152:155], a[18:19], v[134:135], v[152:155]// 0000000048FC: D3D70098 0E630D12
	buffer_load_dwordx4 a[64:67], v35, s[12:15], 0 offen       // 000000004904: E05C1000 80834023
	v_mfma_i32_16x16x32_i8 v[156:159], a[16:17], v[144:145], v[156:159]// 00000000490C: D3D7009C 0E732110
	v_mfma_i32_16x16x32_i8 v[156:159], a[18:19], v[146:147], v[156:159]// 000000004914: D3D7009C 0E732512
	v_mfma_i32_16x16x32_i8 v[160:163], a[20:21], v[132:133], v[160:163]// 00000000491C: D3D700A0 0E830914
	v_mfma_i32_16x16x32_i8 v[160:163], a[22:23], v[134:135], v[160:163]// 000000004924: D3D700A0 0E830D16
	buffer_load_dwordx4 a[68:71], v36, s[12:15], 0 offen       // 00000000492C: E05C1000 80834424
	v_mfma_i32_16x16x32_i8 v[164:167], a[20:21], v[144:145], v[164:167]// 000000004934: D3D700A4 0E932114
	v_mfma_i32_16x16x32_i8 v[164:167], a[22:23], v[146:147], v[164:167]// 00000000493C: D3D700A4 0E932516
	v_mfma_i32_16x16x32_i8 v[168:171], a[24:25], v[132:133], v[168:171]// 000000004944: D3D700A8 0EA30918
	v_mfma_i32_16x16x32_i8 v[168:171], a[26:27], v[134:135], v[168:171]// 00000000494C: D3D700A8 0EA30D1A
	buffer_load_dwordx4 a[72:75], v37, s[12:15], 0 offen       // 000000004954: E05C1000 80834825
	v_mfma_i32_16x16x32_i8 v[172:175], a[24:25], v[144:145], v[172:175]// 00000000495C: D3D700AC 0EB32118
	v_mfma_i32_16x16x32_i8 v[172:175], a[26:27], v[146:147], v[172:175]// 000000004964: D3D700AC 0EB3251A
	v_mfma_i32_16x16x32_i8 v[176:179], a[28:29], v[132:133], v[176:179]// 00000000496C: D3D700B0 0EC3091C
	v_mfma_i32_16x16x32_i8 v[176:179], a[30:31], v[134:135], v[176:179]// 000000004974: D3D700B0 0EC30D1E
	buffer_load_dwordx4 a[76:79], v38, s[12:15], 0 offen       // 00000000497C: E05C1000 80834C26
	s_add_u32 s12, s78, s12                                    // 000000004984: 800C0C4E
	s_addc_u32 s13, 0, s13                                     // 000000004988: 820D0D80
	v_mfma_i32_16x16x32_i8 v[180:183], a[28:29], v[144:145], v[180:183]// 00000000498C: D3D700B4 0ED3211C
	v_mfma_i32_16x16x32_i8 v[180:183], a[30:31], v[146:147], v[180:183]// 000000004994: D3D700B4 0ED3251E
	s_waitcnt vmcnt(24)                                        // 00000000499C: BF8C4F78
	v_mfma_i32_16x16x32_i8 v[152:155], a[32:33], v[136:137], v[152:155]// 0000000049A0: D3D70098 0E631120
	v_mfma_i32_16x16x32_i8 v[152:155], a[34:35], v[138:139], v[152:155]// 0000000049A8: D3D70098 0E631522
	buffer_load_dwordx4 a[80:83], v35, s[12:15], 0 offen       // 0000000049B0: E05C1000 80835023
	v_mfma_i32_16x16x32_i8 v[156:159], a[32:33], v[148:149], v[156:159]// 0000000049B8: D3D7009C 0E732920
	v_mfma_i32_16x16x32_i8 v[156:159], a[34:35], v[150:151], v[156:159]// 0000000049C0: D3D7009C 0E732D22
	buffer_load_dword v12, v5, s[16:19], 0 offen               // 0000000049C8: E0501000 80040C05
	v_mfma_i32_16x16x32_i8 v[160:163], a[36:37], v[136:137], v[160:163]// 0000000049D0: D3D700A0 0E831124
	v_mfma_i32_16x16x32_i8 v[160:163], a[38:39], v[138:139], v[160:163]// 0000000049D8: D3D700A0 0E831526
	buffer_load_dwordx4 a[84:87], v36, s[12:15], 0 offen       // 0000000049E0: E05C1000 80835424
	v_mfma_i32_16x16x32_i8 v[164:167], a[36:37], v[148:149], v[164:167]// 0000000049E8: D3D700A4 0E932924
	v_mfma_i32_16x16x32_i8 v[164:167], a[38:39], v[150:151], v[164:167]// 0000000049F0: D3D700A4 0E932D26
	v_mfma_i32_16x16x32_i8 v[168:171], a[40:41], v[136:137], v[168:171]// 0000000049F8: D3D700A8 0EA31128
	v_mfma_i32_16x16x32_i8 v[168:171], a[42:43], v[138:139], v[168:171]// 000000004A00: D3D700A8 0EA3152A
	buffer_load_dwordx4 a[88:91], v37, s[12:15], 0 offen       // 000000004A08: E05C1000 80835825
	v_mfma_i32_16x16x32_i8 v[172:175], a[40:41], v[148:149], v[172:175]// 000000004A10: D3D700AC 0EB32928
	v_mfma_i32_16x16x32_i8 v[172:175], a[42:43], v[150:151], v[172:175]// 000000004A18: D3D700AC 0EB32D2A
	v_mfma_i32_16x16x32_i8 v[176:179], a[44:45], v[136:137], v[176:179]// 000000004A20: D3D700B0 0EC3112C
	v_mfma_i32_16x16x32_i8 v[176:179], a[46:47], v[138:139], v[176:179]// 000000004A28: D3D700B0 0EC3152E
	buffer_load_dwordx4 a[92:95], v38, s[12:15], 0 offen       // 000000004A30: E05C1000 80835C26
	v_mfma_i32_16x16x32_i8 v[180:183], a[44:45], v[148:149], v[180:183]// 000000004A38: D3D700B4 0ED3292C
	v_mfma_i32_16x16x32_i8 v[180:183], a[46:47], v[150:151], v[180:183]// 000000004A40: D3D700B4 0ED32D2E
	s_add_u32 s60, 0x200, s80                                  // 000000004A48: 803C50FF 00000200
	s_cmp_lt_u32 s60, s81                                      // 000000004A50: BF0A513C
	s_cselect_b32 s56, s56, 0                                  // 000000004A54: 85388038
	s_cselect_b32 s78, s78, 0                                  // 000000004A58: 854E804E
	s_cselect_b32 s79, s79, 0                                  // 000000004A5C: 854F804F
	s_add_u32 s12, s56, s12                                    // 000000004A60: 800C0C38
	s_addc_u32 s13, 0, s13                                     // 000000004A64: 820D0D80
	s_add_u32 s16, s79, s16                                    // 000000004A68: 8010104F
	s_addc_u32 s17, 0, s17                                     // 000000004A6C: 82111180
	v_cvt_f32_i32_e32 v152, v152                               // 000000004A70: 7F300B98
	v_cvt_f32_i32_e32 v153, v153                               // 000000004A74: 7F320B99
	v_cvt_f32_i32_e32 v154, v154                               // 000000004A78: 7F340B9A
	v_cvt_f32_i32_e32 v155, v155                               // 000000004A7C: 7F360B9B
	v_mul_f32_e32 v152, v22, v152                              // 000000004A80: 0B313116
	v_mul_f32_e32 v153, v22, v153                              // 000000004A84: 0B333316
	v_mul_f32_e32 v154, v22, v154                              // 000000004A88: 0B353516
	v_mul_f32_e32 v155, v22, v155                              // 000000004A8C: 0B373716
	v_mul_f32_dpp v152, v11, v152 row_newbcast:0 row_mask:0xf bank_mask:0xf// 000000004A90: 0B3130FA FF01500B
	v_mul_f32_dpp v153, v11, v153 row_newbcast:1 row_mask:0xf bank_mask:0xf// 000000004A98: 0B3332FA FF01510B
	v_mul_f32_dpp v154, v11, v154 row_newbcast:2 row_mask:0xf bank_mask:0xf// 000000004AA0: 0B3534FA FF01520B
	v_mul_f32_dpp v155, v11, v155 row_newbcast:3 row_mask:0xf bank_mask:0xf// 000000004AA8: 0B3736FA FF01530B
	v_mul_f32_e32 v152, v17, v152                              // 000000004AB0: 0B313111
	v_mul_f32_e32 v153, v17, v153                              // 000000004AB4: 0B333311
	v_mul_f32_e32 v154, v17, v154                              // 000000004AB8: 0B353511
	v_mul_f32_e32 v155, v17, v155                              // 000000004ABC: 0B373711
	v_cvt_f32_i32_e32 v156, v156                               // 000000004AC0: 7F380B9C
	v_cvt_f32_i32_e32 v157, v157                               // 000000004AC4: 7F3A0B9D
	v_cvt_f32_i32_e32 v158, v158                               // 000000004AC8: 7F3C0B9E
	v_cvt_f32_i32_e32 v159, v159                               // 000000004ACC: 7F3E0B9F
	v_mul_f32_e32 v156, v23, v156                              // 000000004AD0: 0B393917
	v_mul_f32_e32 v157, v23, v157                              // 000000004AD4: 0B3B3B17
	v_mul_f32_e32 v158, v23, v158                              // 000000004AD8: 0B3D3D17
	v_mul_f32_e32 v159, v23, v159                              // 000000004ADC: 0B3F3F17
	v_mul_f32_dpp v156, v11, v156 row_newbcast:0 row_mask:0xf bank_mask:0xf// 000000004AE0: 0B3938FA FF01500B
	v_mul_f32_dpp v157, v11, v157 row_newbcast:1 row_mask:0xf bank_mask:0xf// 000000004AE8: 0B3B3AFA FF01510B
	v_mul_f32_dpp v158, v11, v158 row_newbcast:2 row_mask:0xf bank_mask:0xf// 000000004AF0: 0B3D3CFA FF01520B
	v_mul_f32_dpp v159, v11, v159 row_newbcast:3 row_mask:0xf bank_mask:0xf// 000000004AF8: 0B3F3EFA FF01530B
	v_mul_f32_e32 v156, v18, v156                              // 000000004B00: 0B393912
	v_mul_f32_e32 v157, v18, v157                              // 000000004B04: 0B3B3B12
	v_mul_f32_e32 v158, v18, v158                              // 000000004B08: 0B3D3D12
	v_mul_f32_e32 v159, v18, v159                              // 000000004B0C: 0B3F3F12
	v_cvt_f32_i32_e32 v160, v160                               // 000000004B10: 7F400BA0
	v_cvt_f32_i32_e32 v161, v161                               // 000000004B14: 7F420BA1
	v_cvt_f32_i32_e32 v162, v162                               // 000000004B18: 7F440BA2
	v_cvt_f32_i32_e32 v163, v163                               // 000000004B1C: 7F460BA3
	v_mul_f32_e32 v160, v22, v160                              // 000000004B20: 0B414116
	v_mul_f32_e32 v161, v22, v161                              // 000000004B24: 0B434316
	v_mul_f32_e32 v162, v22, v162                              // 000000004B28: 0B454516
	v_mul_f32_e32 v163, v22, v163                              // 000000004B2C: 0B474716
	v_mul_f32_dpp v160, v11, v160 row_newbcast:4 row_mask:0xf bank_mask:0xf// 000000004B30: 0B4140FA FF01540B
	v_mul_f32_dpp v161, v11, v161 row_newbcast:5 row_mask:0xf bank_mask:0xf// 000000004B38: 0B4342FA FF01550B
	v_mul_f32_dpp v162, v11, v162 row_newbcast:6 row_mask:0xf bank_mask:0xf// 000000004B40: 0B4544FA FF01560B
	v_mul_f32_dpp v163, v11, v163 row_newbcast:7 row_mask:0xf bank_mask:0xf// 000000004B48: 0B4746FA FF01570B
	v_mul_f32_e32 v160, v17, v160                              // 000000004B50: 0B414111
	v_mul_f32_e32 v161, v17, v161                              // 000000004B54: 0B434311
	v_mul_f32_e32 v162, v17, v162                              // 000000004B58: 0B454511
	v_mul_f32_e32 v163, v17, v163                              // 000000004B5C: 0B474711
	v_cvt_f32_i32_e32 v164, v164                               // 000000004B60: 7F480BA4
	v_cvt_f32_i32_e32 v165, v165                               // 000000004B64: 7F4A0BA5
	v_cvt_f32_i32_e32 v166, v166                               // 000000004B68: 7F4C0BA6
	v_cvt_f32_i32_e32 v167, v167                               // 000000004B6C: 7F4E0BA7
	v_mul_f32_e32 v164, v23, v164                              // 000000004B70: 0B494917
	v_mul_f32_e32 v165, v23, v165                              // 000000004B74: 0B4B4B17
	v_mul_f32_e32 v166, v23, v166                              // 000000004B78: 0B4D4D17
	v_mul_f32_e32 v167, v23, v167                              // 000000004B7C: 0B4F4F17
	v_mul_f32_dpp v164, v11, v164 row_newbcast:4 row_mask:0xf bank_mask:0xf// 000000004B80: 0B4948FA FF01540B
	v_mul_f32_dpp v165, v11, v165 row_newbcast:5 row_mask:0xf bank_mask:0xf// 000000004B88: 0B4B4AFA FF01550B
	v_mul_f32_dpp v166, v11, v166 row_newbcast:6 row_mask:0xf bank_mask:0xf// 000000004B90: 0B4D4CFA FF01560B
	v_mul_f32_dpp v167, v11, v167 row_newbcast:7 row_mask:0xf bank_mask:0xf// 000000004B98: 0B4F4EFA FF01570B
	v_mul_f32_e32 v164, v18, v164                              // 000000004BA0: 0B494912
	v_mul_f32_e32 v165, v18, v165                              // 000000004BA4: 0B4B4B12
	v_mul_f32_e32 v166, v18, v166                              // 000000004BA8: 0B4D4D12
	v_mul_f32_e32 v167, v18, v167                              // 000000004BAC: 0B4F4F12
	v_cvt_f32_i32_e32 v168, v168                               // 000000004BB0: 7F500BA8
	v_cvt_f32_i32_e32 v169, v169                               // 000000004BB4: 7F520BA9
	v_cvt_f32_i32_e32 v170, v170                               // 000000004BB8: 7F540BAA
	v_cvt_f32_i32_e32 v171, v171                               // 000000004BBC: 7F560BAB
	v_mul_f32_e32 v168, v22, v168                              // 000000004BC0: 0B515116
	v_mul_f32_e32 v169, v22, v169                              // 000000004BC4: 0B535316
	v_mul_f32_e32 v170, v22, v170                              // 000000004BC8: 0B555516
	v_mul_f32_e32 v171, v22, v171                              // 000000004BCC: 0B575716
	v_mul_f32_dpp v168, v11, v168 row_newbcast:8 row_mask:0xf bank_mask:0xf// 000000004BD0: 0B5150FA FF01580B
	v_mul_f32_dpp v169, v11, v169 row_newbcast:9 row_mask:0xf bank_mask:0xf// 000000004BD8: 0B5352FA FF01590B
	v_mul_f32_dpp v170, v11, v170 row_newbcast:10 row_mask:0xf bank_mask:0xf// 000000004BE0: 0B5554FA FF015A0B
	v_mul_f32_dpp v171, v11, v171 row_newbcast:11 row_mask:0xf bank_mask:0xf// 000000004BE8: 0B5756FA FF015B0B
	v_mul_f32_e32 v168, v17, v168                              // 000000004BF0: 0B515111
	v_mul_f32_e32 v169, v17, v169                              // 000000004BF4: 0B535311
	v_mul_f32_e32 v170, v17, v170                              // 000000004BF8: 0B555511
	v_mul_f32_e32 v171, v17, v171                              // 000000004BFC: 0B575711
	v_cvt_f32_i32_e32 v172, v172                               // 000000004C00: 7F580BAC
	v_cvt_f32_i32_e32 v173, v173                               // 000000004C04: 7F5A0BAD
	v_cvt_f32_i32_e32 v174, v174                               // 000000004C08: 7F5C0BAE
	v_cvt_f32_i32_e32 v175, v175                               // 000000004C0C: 7F5E0BAF
	v_mul_f32_e32 v172, v23, v172                              // 000000004C10: 0B595917
	v_mul_f32_e32 v173, v23, v173                              // 000000004C14: 0B5B5B17
	v_mul_f32_e32 v174, v23, v174                              // 000000004C18: 0B5D5D17
	v_mul_f32_e32 v175, v23, v175                              // 000000004C1C: 0B5F5F17
	v_mul_f32_dpp v172, v11, v172 row_newbcast:8 row_mask:0xf bank_mask:0xf// 000000004C20: 0B5958FA FF01580B
	v_mul_f32_dpp v173, v11, v173 row_newbcast:9 row_mask:0xf bank_mask:0xf// 000000004C28: 0B5B5AFA FF01590B
	v_mul_f32_dpp v174, v11, v174 row_newbcast:10 row_mask:0xf bank_mask:0xf// 000000004C30: 0B5D5CFA FF015A0B
	v_mul_f32_dpp v175, v11, v175 row_newbcast:11 row_mask:0xf bank_mask:0xf// 000000004C38: 0B5F5EFA FF015B0B
	v_mul_f32_e32 v172, v18, v172                              // 000000004C40: 0B595912
	v_mul_f32_e32 v173, v18, v173                              // 000000004C44: 0B5B5B12
	v_mul_f32_e32 v174, v18, v174                              // 000000004C48: 0B5D5D12
	v_mul_f32_e32 v175, v18, v175                              // 000000004C4C: 0B5F5F12
	v_cvt_f32_i32_e32 v176, v176                               // 000000004C50: 7F600BB0
	v_cvt_f32_i32_e32 v177, v177                               // 000000004C54: 7F620BB1
	v_cvt_f32_i32_e32 v178, v178                               // 000000004C58: 7F640BB2
	v_cvt_f32_i32_e32 v179, v179                               // 000000004C5C: 7F660BB3
	v_mul_f32_e32 v176, v22, v176                              // 000000004C60: 0B616116
	v_mul_f32_e32 v177, v22, v177                              // 000000004C64: 0B636316
	v_mul_f32_e32 v178, v22, v178                              // 000000004C68: 0B656516
	v_mul_f32_e32 v179, v22, v179                              // 000000004C6C: 0B676716
	v_mul_f32_dpp v176, v11, v176 row_newbcast:12 row_mask:0xf bank_mask:0xf// 000000004C70: 0B6160FA FF015C0B
	v_mul_f32_dpp v177, v11, v177 row_newbcast:13 row_mask:0xf bank_mask:0xf// 000000004C78: 0B6362FA FF015D0B
	v_mul_f32_dpp v178, v11, v178 row_newbcast:14 row_mask:0xf bank_mask:0xf// 000000004C80: 0B6564FA FF015E0B
	v_mul_f32_dpp v179, v11, v179 row_newbcast:15 row_mask:0xf bank_mask:0xf// 000000004C88: 0B6766FA FF015F0B
	v_mul_f32_e32 v176, v17, v176                              // 000000004C90: 0B616111
	v_mul_f32_e32 v177, v17, v177                              // 000000004C94: 0B636311
	v_mul_f32_e32 v178, v17, v178                              // 000000004C98: 0B656511
	v_mul_f32_e32 v179, v17, v179                              // 000000004C9C: 0B676711
	v_cvt_f32_i32_e32 v180, v180                               // 000000004CA0: 7F680BB4
	v_cvt_f32_i32_e32 v181, v181                               // 000000004CA4: 7F6A0BB5
	v_cvt_f32_i32_e32 v182, v182                               // 000000004CA8: 7F6C0BB6
	v_cvt_f32_i32_e32 v183, v183                               // 000000004CAC: 7F6E0BB7
	v_mul_f32_e32 v180, v23, v180                              // 000000004CB0: 0B696917
	v_mul_f32_e32 v181, v23, v181                              // 000000004CB4: 0B6B6B17
	v_mul_f32_e32 v182, v23, v182                              // 000000004CB8: 0B6D6D17
	v_mul_f32_e32 v183, v23, v183                              // 000000004CBC: 0B6F6F17
	v_mul_f32_dpp v180, v11, v180 row_newbcast:12 row_mask:0xf bank_mask:0xf// 000000004CC0: 0B6968FA FF015C0B
	v_mul_f32_dpp v181, v11, v181 row_newbcast:13 row_mask:0xf bank_mask:0xf// 000000004CC8: 0B6B6AFA FF015D0B
	v_mul_f32_dpp v182, v11, v182 row_newbcast:14 row_mask:0xf bank_mask:0xf// 000000004CD0: 0B6D6CFA FF015E0B
	v_mul_f32_dpp v183, v11, v183 row_newbcast:15 row_mask:0xf bank_mask:0xf// 000000004CD8: 0B6F6EFA FF015F0B
	v_mul_f32_e32 v180, v18, v180                              // 000000004CE0: 0B696912
	v_mul_f32_e32 v181, v18, v181                              // 000000004CE4: 0B6B6B12
	v_mul_f32_e32 v182, v18, v182                              // 000000004CE8: 0B6D6D12
	v_mul_f32_e32 v183, v18, v183                              // 000000004CEC: 0B6F6F12
	v_cvt_pkrtz_f16_f32 v152, v152, v153                       // 000000004CF0: D2960098 00033398
	v_cvt_pkrtz_f16_f32 v153, v154, v155                       // 000000004CF8: D2960099 0003379A
	v_cvt_pkrtz_f16_f32 v154, v156, v157                       // 000000004D00: D296009A 00033B9C
	v_cvt_pkrtz_f16_f32 v155, v158, v159                       // 000000004D08: D296009B 00033F9E
	v_cvt_pkrtz_f16_f32 v156, v160, v161                       // 000000004D10: D296009C 000343A0
	v_cvt_pkrtz_f16_f32 v157, v162, v163                       // 000000004D18: D296009D 000347A2
	v_cvt_pkrtz_f16_f32 v158, v164, v165                       // 000000004D20: D296009E 00034BA4
	v_cvt_pkrtz_f16_f32 v159, v166, v167                       // 000000004D28: D296009F 00034FA6
	v_cvt_pkrtz_f16_f32 v160, v168, v169                       // 000000004D30: D29600A0 000353A8
	v_cvt_pkrtz_f16_f32 v161, v170, v171                       // 000000004D38: D29600A1 000357AA
	v_cvt_pkrtz_f16_f32 v162, v172, v173                       // 000000004D40: D29600A2 00035BAC
	v_cvt_pkrtz_f16_f32 v163, v174, v175                       // 000000004D48: D29600A3 00035FAE
	v_cvt_pkrtz_f16_f32 v164, v176, v177                       // 000000004D50: D29600A4 000363B0
	v_cvt_pkrtz_f16_f32 v165, v178, v179                       // 000000004D58: D29600A5 000367B2
	v_cvt_pkrtz_f16_f32 v166, v180, v181                       // 000000004D60: D29600A6 00036BB4
	v_cvt_pkrtz_f16_f32 v167, v182, v183                       // 000000004D68: D29600A7 00036FB6
	ds_write_b64 v3, v[152:153] offset:24832                   // 000000004D70: D89A6100 00009803
	ds_write_b64 v3, v[154:155] offset:33536                   // 000000004D78: D89A8300 00009A03
	ds_write_b64 v3, v[156:157] offset:27008                   // 000000004D80: D89A6980 00009C03
	ds_write_b64 v3, v[158:159] offset:35712                   // 000000004D88: D89A8B80 00009E03
	ds_write_b64 v3, v[160:161] offset:29184                   // 000000004D90: D89A7200 0000A003
	ds_write_b64 v3, v[162:163] offset:37888                   // 000000004D98: D89A9400 0000A203
	ds_write_b64 v3, v[164:165] offset:31360                   // 000000004DA0: D89A7A80 0000A403
	ds_write_b64 v3, v[166:167] offset:40064                   // 000000004DA8: D89A9C80 0000A603
	s_waitcnt lgkmcnt(0)                                       // 000000004DB0: BF8CC07F
	s_barrier                                                  // 000000004DB4: BF8A0000
	ds_read_b32 v64, v4 offset:24832                           // 000000004DB8: D86C6100 40000004
	ds_read_b32 v65, v4 offset:29184                           // 000000004DC0: D86C7200 41000004
	ds_read_b32 v66, v4 offset:24864                           // 000000004DC8: D86C6120 42000004
	ds_read_b32 v67, v4 offset:29216                           // 000000004DD0: D86C7220 43000004
	ds_read_b32 v68, v4 offset:24896                           // 000000004DD8: D86C6140 44000004
	ds_read_b32 v69, v4 offset:29248                           // 000000004DE0: D86C7240 45000004
	ds_read_b32 v70, v4 offset:24928                           // 000000004DE8: D86C6160 46000004
	ds_read_b32 v71, v4 offset:29280                           // 000000004DF0: D86C7260 47000004
	ds_read_b32 v72, v4 offset:33536                           // 000000004DF8: D86C8300 48000004
	ds_read_b32 v73, v4 offset:37888                           // 000000004E00: D86C9400 49000004
	ds_read_b32 v74, v4 offset:33568                           // 000000004E08: D86C8320 4A000004
	ds_read_b32 v75, v4 offset:37920                           // 000000004E10: D86C9420 4B000004
	ds_read_b32 v76, v4 offset:33600                           // 000000004E18: D86C8340 4C000004
	ds_read_b32 v77, v4 offset:37952                           // 000000004E20: D86C9440 4D000004
	ds_read_b32 v78, v4 offset:33632                           // 000000004E28: D86C8360 4E000004
	ds_read_b32 v79, v4 offset:37984                           // 000000004E30: D86C9460 4F000004
	s_waitcnt lgkmcnt(0)                                       // 000000004E38: BF8CC07F
	s_mov_b64 exec, s[20:21]                                   // 000000004E3C: BEFE0114
	global_atomic_pk_add_f16 v80, v64, s[8:9]                  // 000000004E40: DD388000 00084050
	s_mov_b64 exec, s[36:37]                                   // 000000004E48: BEFE0124
	s_mov_b64 exec, s[20:21]                                   // 000000004E4C: BEFE0114
	global_atomic_pk_add_f16 v80, v65, s[8:9] offset:256       // 000000004E50: DD388100 00084150
	s_mov_b64 exec, s[36:37]                                   // 000000004E58: BEFE0124
	s_mov_b64 exec, s[22:23]                                   // 000000004E5C: BEFE0116
	global_atomic_pk_add_f16 v82, v66, s[8:9]                  // 000000004E60: DD388000 00084252
	s_mov_b64 exec, s[36:37]                                   // 000000004E68: BEFE0124
	s_mov_b64 exec, s[22:23]                                   // 000000004E6C: BEFE0116
	global_atomic_pk_add_f16 v82, v67, s[8:9] offset:256       // 000000004E70: DD388100 00084352
	s_mov_b64 exec, s[36:37]                                   // 000000004E78: BEFE0124
	s_mov_b64 exec, s[24:25]                                   // 000000004E7C: BEFE0118
	global_atomic_pk_add_f16 v84, v68, s[8:9]                  // 000000004E80: DD388000 00084454
	s_mov_b64 exec, s[36:37]                                   // 000000004E88: BEFE0124
	s_mov_b64 exec, s[24:25]                                   // 000000004E8C: BEFE0118
	global_atomic_pk_add_f16 v84, v69, s[8:9] offset:256       // 000000004E90: DD388100 00084554
	s_mov_b64 exec, s[36:37]                                   // 000000004E98: BEFE0124
	s_mov_b64 exec, s[26:27]                                   // 000000004E9C: BEFE011A
	global_atomic_pk_add_f16 v86, v70, s[8:9]                  // 000000004EA0: DD388000 00084656
	s_mov_b64 exec, s[36:37]                                   // 000000004EA8: BEFE0124
	s_mov_b64 exec, s[26:27]                                   // 000000004EAC: BEFE011A
	global_atomic_pk_add_f16 v86, v71, s[8:9] offset:256       // 000000004EB0: DD388100 00084756
	s_mov_b64 exec, s[36:37]                                   // 000000004EB8: BEFE0124
	s_mov_b64 exec, s[28:29]                                   // 000000004EBC: BEFE011C
	global_atomic_pk_add_f16 v88, v72, s[8:9]                  // 000000004EC0: DD388000 00084858
	s_mov_b64 exec, s[36:37]                                   // 000000004EC8: BEFE0124
	s_mov_b64 exec, s[28:29]                                   // 000000004ECC: BEFE011C
	global_atomic_pk_add_f16 v88, v73, s[8:9] offset:256       // 000000004ED0: DD388100 00084958
	s_mov_b64 exec, s[36:37]                                   // 000000004ED8: BEFE0124
	s_mov_b64 exec, s[30:31]                                   // 000000004EDC: BEFE011E
	global_atomic_pk_add_f16 v90, v74, s[8:9]                  // 000000004EE0: DD388000 00084A5A
	s_mov_b64 exec, s[36:37]                                   // 000000004EE8: BEFE0124
	s_mov_b64 exec, s[30:31]                                   // 000000004EEC: BEFE011E
	global_atomic_pk_add_f16 v90, v75, s[8:9] offset:256       // 000000004EF0: DD388100 00084B5A
	s_mov_b64 exec, s[36:37]                                   // 000000004EF8: BEFE0124
	s_mov_b64 exec, s[32:33]                                   // 000000004EFC: BEFE0120
	global_atomic_pk_add_f16 v92, v76, s[8:9]                  // 000000004F00: DD388000 00084C5C
	s_mov_b64 exec, s[36:37]                                   // 000000004F08: BEFE0124
	s_mov_b64 exec, s[32:33]                                   // 000000004F0C: BEFE0120
	global_atomic_pk_add_f16 v92, v77, s[8:9] offset:256       // 000000004F10: DD388100 00084D5C
	s_mov_b64 exec, s[36:37]                                   // 000000004F18: BEFE0124
	s_mov_b64 exec, s[34:35]                                   // 000000004F1C: BEFE0122
	global_atomic_pk_add_f16 v94, v78, s[8:9]                  // 000000004F20: DD388000 00084E5E
	s_mov_b64 exec, s[36:37]                                   // 000000004F28: BEFE0124
	s_mov_b64 exec, s[34:35]                                   // 000000004F2C: BEFE0122
	global_atomic_pk_add_f16 v94, v79, s[8:9] offset:256       // 000000004F30: DD388100 00084F5E
	s_mov_b64 exec, s[36:37]                                   // 000000004F38: BEFE0124
	s_add_u32 s8, s59, s8                                      // 000000004F3C: 8008083B
	s_addc_u32 s9, 0, s9                                       // 000000004F40: 82090980
	s_addk_i32 s80, 0x100                                      // 000000004F44: B7500100
	s_cmp_lt_i32 s80, s81                                      // 000000004F48: BF045150
	s_cbranch_scc0 label_0A19                                  // 000000004F4C: BF8401C5
	s_waitcnt vmcnt(25)                                        // 000000004F50: BF8C4F79
	s_barrier                                                  // 000000004F54: BF8A0000
	v_mfma_i32_16x16x32_i8 v[184:187], a[48:49], v[128:129], 0 // 000000004F58: D3D700B8 0A030130
	v_mfma_i32_16x16x32_i8 v[184:187], a[50:51], v[130:131], v[184:187]// 000000004F60: D3D700B8 0EE30532
	buffer_load_dwordx4 a[0:3], v35, s[12:15], 0 offen         // 000000004F68: E05C1000 80830023
	v_mfma_i32_16x16x32_i8 v[188:191], a[48:49], v[140:141], 0 // 000000004F70: D3D700BC 0A031930
	v_mfma_i32_16x16x32_i8 v[188:191], a[50:51], v[142:143], v[188:191]// 000000004F78: D3D700BC 0EF31D32
	v_mfma_i32_16x16x32_i8 v[192:195], a[52:53], v[128:129], 0 // 000000004F80: D3D700C0 0A030134
	v_mfma_i32_16x16x32_i8 v[192:195], a[54:55], v[130:131], v[192:195]// 000000004F88: D3D700C0 0F030536
	buffer_load_dwordx4 a[4:7], v36, s[12:15], 0 offen         // 000000004F90: E05C1000 80830424
	v_mfma_i32_16x16x32_i8 v[196:199], a[52:53], v[140:141], 0 // 000000004F98: D3D700C4 0A031934
	v_mfma_i32_16x16x32_i8 v[196:199], a[54:55], v[142:143], v[196:199]// 000000004FA0: D3D700C4 0F131D36
	v_mfma_i32_16x16x32_i8 v[200:203], a[56:57], v[128:129], 0 // 000000004FA8: D3D700C8 0A030138
	v_mfma_i32_16x16x32_i8 v[200:203], a[58:59], v[130:131], v[200:203]// 000000004FB0: D3D700C8 0F23053A
	buffer_load_dwordx4 a[8:11], v37, s[12:15], 0 offen        // 000000004FB8: E05C1000 80830825
	v_mfma_i32_16x16x32_i8 v[204:207], a[56:57], v[140:141], 0 // 000000004FC0: D3D700CC 0A031938
	v_mfma_i32_16x16x32_i8 v[204:207], a[58:59], v[142:143], v[204:207]// 000000004FC8: D3D700CC 0F331D3A
	v_mfma_i32_16x16x32_i8 v[208:211], a[60:61], v[128:129], 0 // 000000004FD0: D3D700D0 0A03013C
	v_mfma_i32_16x16x32_i8 v[208:211], a[62:63], v[130:131], v[208:211]// 000000004FD8: D3D700D0 0F43053E
	buffer_load_dwordx4 a[12:15], v38, s[12:15], 0 offen       // 000000004FE0: E05C1000 80830C26
	s_add_u32 s12, s78, s12                                    // 000000004FE8: 800C0C4E
	s_addc_u32 s13, 0, s13                                     // 000000004FEC: 820D0D80
	v_mfma_i32_16x16x32_i8 v[212:215], a[60:61], v[140:141], 0 // 000000004FF0: D3D700D4 0A03193C
	v_mfma_i32_16x16x32_i8 v[212:215], a[62:63], v[142:143], v[212:215]// 000000004FF8: D3D700D4 0F531D3E
	s_waitcnt vmcnt(25)                                        // 000000005000: BF8C4F79
	v_mfma_i32_16x16x32_i8 v[184:187], a[64:65], v[132:133], v[184:187]// 000000005004: D3D700B8 0EE30940
	v_mfma_i32_16x16x32_i8 v[184:187], a[66:67], v[134:135], v[184:187]// 00000000500C: D3D700B8 0EE30D42
	buffer_load_dwordx4 a[16:19], v35, s[12:15], 0 offen       // 000000005014: E05C1000 80831023
	v_mfma_i32_16x16x32_i8 v[188:191], a[64:65], v[144:145], v[188:191]// 00000000501C: D3D700BC 0EF32140
	v_mfma_i32_16x16x32_i8 v[188:191], a[66:67], v[146:147], v[188:191]// 000000005024: D3D700BC 0EF32542
	v_mfma_i32_16x16x32_i8 v[192:195], a[68:69], v[132:133], v[192:195]// 00000000502C: D3D700C0 0F030944
	v_mfma_i32_16x16x32_i8 v[192:195], a[70:71], v[134:135], v[192:195]// 000000005034: D3D700C0 0F030D46
	buffer_load_dwordx4 a[20:23], v36, s[12:15], 0 offen       // 00000000503C: E05C1000 80831424
	v_mfma_i32_16x16x32_i8 v[196:199], a[68:69], v[144:145], v[196:199]// 000000005044: D3D700C4 0F132144
	v_mfma_i32_16x16x32_i8 v[196:199], a[70:71], v[146:147], v[196:199]// 00000000504C: D3D700C4 0F132546
	v_mfma_i32_16x16x32_i8 v[200:203], a[72:73], v[132:133], v[200:203]// 000000005054: D3D700C8 0F230948
	v_mfma_i32_16x16x32_i8 v[200:203], a[74:75], v[134:135], v[200:203]// 00000000505C: D3D700C8 0F230D4A
	buffer_load_dwordx4 a[24:27], v37, s[12:15], 0 offen       // 000000005064: E05C1000 80831825
	v_mfma_i32_16x16x32_i8 v[204:207], a[72:73], v[144:145], v[204:207]// 00000000506C: D3D700CC 0F332148
	v_mfma_i32_16x16x32_i8 v[204:207], a[74:75], v[146:147], v[204:207]// 000000005074: D3D700CC 0F33254A
	v_mfma_i32_16x16x32_i8 v[208:211], a[76:77], v[132:133], v[208:211]// 00000000507C: D3D700D0 0F43094C
	v_mfma_i32_16x16x32_i8 v[208:211], a[78:79], v[134:135], v[208:211]// 000000005084: D3D700D0 0F430D4E
	buffer_load_dwordx4 a[28:31], v38, s[12:15], 0 offen       // 00000000508C: E05C1000 80831C26
	s_add_u32 s12, s78, s12                                    // 000000005094: 800C0C4E
	s_addc_u32 s13, 0, s13                                     // 000000005098: 820D0D80
	v_mfma_i32_16x16x32_i8 v[212:215], a[76:77], v[144:145], v[212:215]// 00000000509C: D3D700D4 0F53214C
	v_mfma_i32_16x16x32_i8 v[212:215], a[78:79], v[146:147], v[212:215]// 0000000050A4: D3D700D4 0F53254E
	s_waitcnt vmcnt(24)                                        // 0000000050AC: BF8C4F78
	v_mfma_i32_16x16x32_i8 v[184:187], a[80:81], v[136:137], v[184:187]// 0000000050B0: D3D700B8 0EE31150
	v_mfma_i32_16x16x32_i8 v[184:187], a[82:83], v[138:139], v[184:187]// 0000000050B8: D3D700B8 0EE31552
	buffer_load_dwordx4 a[32:35], v35, s[12:15], 0 offen       // 0000000050C0: E05C1000 80832023
	v_mfma_i32_16x16x32_i8 v[188:191], a[80:81], v[148:149], v[188:191]// 0000000050C8: D3D700BC 0EF32950
	v_mfma_i32_16x16x32_i8 v[188:191], a[82:83], v[150:151], v[188:191]// 0000000050D0: D3D700BC 0EF32D52
	buffer_load_dword v11, v5, s[16:19], 0 offen               // 0000000050D8: E0501000 80040B05
	v_mfma_i32_16x16x32_i8 v[192:195], a[84:85], v[136:137], v[192:195]// 0000000050E0: D3D700C0 0F031154
	v_mfma_i32_16x16x32_i8 v[192:195], a[86:87], v[138:139], v[192:195]// 0000000050E8: D3D700C0 0F031556
	buffer_load_dwordx4 a[36:39], v36, s[12:15], 0 offen       // 0000000050F0: E05C1000 80832424
	v_mfma_i32_16x16x32_i8 v[196:199], a[84:85], v[148:149], v[196:199]// 0000000050F8: D3D700C4 0F132954
	v_mfma_i32_16x16x32_i8 v[196:199], a[86:87], v[150:151], v[196:199]// 000000005100: D3D700C4 0F132D56
	v_mfma_i32_16x16x32_i8 v[200:203], a[88:89], v[136:137], v[200:203]// 000000005108: D3D700C8 0F231158
	v_mfma_i32_16x16x32_i8 v[200:203], a[90:91], v[138:139], v[200:203]// 000000005110: D3D700C8 0F23155A
	buffer_load_dwordx4 a[40:43], v37, s[12:15], 0 offen       // 000000005118: E05C1000 80832825
	v_mfma_i32_16x16x32_i8 v[204:207], a[88:89], v[148:149], v[204:207]// 000000005120: D3D700CC 0F332958
	v_mfma_i32_16x16x32_i8 v[204:207], a[90:91], v[150:151], v[204:207]// 000000005128: D3D700CC 0F332D5A
	v_mfma_i32_16x16x32_i8 v[208:211], a[92:93], v[136:137], v[208:211]// 000000005130: D3D700D0 0F43115C
	v_mfma_i32_16x16x32_i8 v[208:211], a[94:95], v[138:139], v[208:211]// 000000005138: D3D700D0 0F43155E
	buffer_load_dwordx4 a[44:47], v38, s[12:15], 0 offen       // 000000005140: E05C1000 80832C26
	v_mfma_i32_16x16x32_i8 v[212:215], a[92:93], v[148:149], v[212:215]// 000000005148: D3D700D4 0F53295C
	v_mfma_i32_16x16x32_i8 v[212:215], a[94:95], v[150:151], v[212:215]// 000000005150: D3D700D4 0F532D5E
	s_add_u32 s60, 0x200, s80                                  // 000000005158: 803C50FF 00000200
	s_cmp_lt_u32 s60, s81                                      // 000000005160: BF0A513C
	s_cselect_b32 s56, s56, 0                                  // 000000005164: 85388038
	s_cselect_b32 s78, s78, 0                                  // 000000005168: 854E804E
	s_cselect_b32 s79, s79, 0                                  // 00000000516C: 854F804F
	s_add_u32 s12, s56, s12                                    // 000000005170: 800C0C38
	s_addc_u32 s13, 0, s13                                     // 000000005174: 820D0D80
	s_add_u32 s16, s79, s16                                    // 000000005178: 8010104F
	s_addc_u32 s17, 0, s17                                     // 00000000517C: 82111180
	v_cvt_f32_i32_e32 v184, v184                               // 000000005180: 7F700BB8
	v_cvt_f32_i32_e32 v185, v185                               // 000000005184: 7F720BB9
	v_cvt_f32_i32_e32 v186, v186                               // 000000005188: 7F740BBA
	v_cvt_f32_i32_e32 v187, v187                               // 00000000518C: 7F760BBB
	v_mul_f32_e32 v184, v22, v184                              // 000000005190: 0B717116
	v_mul_f32_e32 v185, v22, v185                              // 000000005194: 0B737316
	v_mul_f32_e32 v186, v22, v186                              // 000000005198: 0B757516
	v_mul_f32_e32 v187, v22, v187                              // 00000000519C: 0B777716
	v_mul_f32_dpp v184, v12, v184 row_newbcast:0 row_mask:0xf bank_mask:0xf// 0000000051A0: 0B7170FA FF01500C
	v_mul_f32_dpp v185, v12, v185 row_newbcast:1 row_mask:0xf bank_mask:0xf// 0000000051A8: 0B7372FA FF01510C
	v_mul_f32_dpp v186, v12, v186 row_newbcast:2 row_mask:0xf bank_mask:0xf// 0000000051B0: 0B7574FA FF01520C
	v_mul_f32_dpp v187, v12, v187 row_newbcast:3 row_mask:0xf bank_mask:0xf// 0000000051B8: 0B7776FA FF01530C
	v_mul_f32_e32 v184, v17, v184                              // 0000000051C0: 0B717111
	v_mul_f32_e32 v185, v17, v185                              // 0000000051C4: 0B737311
	v_mul_f32_e32 v186, v17, v186                              // 0000000051C8: 0B757511
	v_mul_f32_e32 v187, v17, v187                              // 0000000051CC: 0B777711
	v_cvt_f32_i32_e32 v188, v188                               // 0000000051D0: 7F780BBC
	v_cvt_f32_i32_e32 v189, v189                               // 0000000051D4: 7F7A0BBD
	v_cvt_f32_i32_e32 v190, v190                               // 0000000051D8: 7F7C0BBE
	v_cvt_f32_i32_e32 v191, v191                               // 0000000051DC: 7F7E0BBF
	v_mul_f32_e32 v188, v23, v188                              // 0000000051E0: 0B797917
	v_mul_f32_e32 v189, v23, v189                              // 0000000051E4: 0B7B7B17
	v_mul_f32_e32 v190, v23, v190                              // 0000000051E8: 0B7D7D17
	v_mul_f32_e32 v191, v23, v191                              // 0000000051EC: 0B7F7F17
	v_mul_f32_dpp v188, v12, v188 row_newbcast:0 row_mask:0xf bank_mask:0xf// 0000000051F0: 0B7978FA FF01500C
	v_mul_f32_dpp v189, v12, v189 row_newbcast:1 row_mask:0xf bank_mask:0xf// 0000000051F8: 0B7B7AFA FF01510C
	v_mul_f32_dpp v190, v12, v190 row_newbcast:2 row_mask:0xf bank_mask:0xf// 000000005200: 0B7D7CFA FF01520C
	v_mul_f32_dpp v191, v12, v191 row_newbcast:3 row_mask:0xf bank_mask:0xf// 000000005208: 0B7F7EFA FF01530C
	v_mul_f32_e32 v188, v18, v188                              // 000000005210: 0B797912
	v_mul_f32_e32 v189, v18, v189                              // 000000005214: 0B7B7B12
	v_mul_f32_e32 v190, v18, v190                              // 000000005218: 0B7D7D12
	v_mul_f32_e32 v191, v18, v191                              // 00000000521C: 0B7F7F12
	v_cvt_f32_i32_e32 v192, v192                               // 000000005220: 7F800BC0
	v_cvt_f32_i32_e32 v193, v193                               // 000000005224: 7F820BC1
	v_cvt_f32_i32_e32 v194, v194                               // 000000005228: 7F840BC2
	v_cvt_f32_i32_e32 v195, v195                               // 00000000522C: 7F860BC3
	v_mul_f32_e32 v192, v22, v192                              // 000000005230: 0B818116
	v_mul_f32_e32 v193, v22, v193                              // 000000005234: 0B838316
	v_mul_f32_e32 v194, v22, v194                              // 000000005238: 0B858516
	v_mul_f32_e32 v195, v22, v195                              // 00000000523C: 0B878716
	v_mul_f32_dpp v192, v12, v192 row_newbcast:4 row_mask:0xf bank_mask:0xf// 000000005240: 0B8180FA FF01540C
	v_mul_f32_dpp v193, v12, v193 row_newbcast:5 row_mask:0xf bank_mask:0xf// 000000005248: 0B8382FA FF01550C
	v_mul_f32_dpp v194, v12, v194 row_newbcast:6 row_mask:0xf bank_mask:0xf// 000000005250: 0B8584FA FF01560C
	v_mul_f32_dpp v195, v12, v195 row_newbcast:7 row_mask:0xf bank_mask:0xf// 000000005258: 0B8786FA FF01570C
	v_mul_f32_e32 v192, v17, v192                              // 000000005260: 0B818111
	v_mul_f32_e32 v193, v17, v193                              // 000000005264: 0B838311
	v_mul_f32_e32 v194, v17, v194                              // 000000005268: 0B858511
	v_mul_f32_e32 v195, v17, v195                              // 00000000526C: 0B878711
	v_cvt_f32_i32_e32 v196, v196                               // 000000005270: 7F880BC4
	v_cvt_f32_i32_e32 v197, v197                               // 000000005274: 7F8A0BC5
	v_cvt_f32_i32_e32 v198, v198                               // 000000005278: 7F8C0BC6
	v_cvt_f32_i32_e32 v199, v199                               // 00000000527C: 7F8E0BC7
	v_mul_f32_e32 v196, v23, v196                              // 000000005280: 0B898917
	v_mul_f32_e32 v197, v23, v197                              // 000000005284: 0B8B8B17
	v_mul_f32_e32 v198, v23, v198                              // 000000005288: 0B8D8D17
	v_mul_f32_e32 v199, v23, v199                              // 00000000528C: 0B8F8F17
	v_mul_f32_dpp v196, v12, v196 row_newbcast:4 row_mask:0xf bank_mask:0xf// 000000005290: 0B8988FA FF01540C
	v_mul_f32_dpp v197, v12, v197 row_newbcast:5 row_mask:0xf bank_mask:0xf// 000000005298: 0B8B8AFA FF01550C
	v_mul_f32_dpp v198, v12, v198 row_newbcast:6 row_mask:0xf bank_mask:0xf// 0000000052A0: 0B8D8CFA FF01560C
	v_mul_f32_dpp v199, v12, v199 row_newbcast:7 row_mask:0xf bank_mask:0xf// 0000000052A8: 0B8F8EFA FF01570C
	v_mul_f32_e32 v196, v18, v196                              // 0000000052B0: 0B898912
	v_mul_f32_e32 v197, v18, v197                              // 0000000052B4: 0B8B8B12
	v_mul_f32_e32 v198, v18, v198                              // 0000000052B8: 0B8D8D12
	v_mul_f32_e32 v199, v18, v199                              // 0000000052BC: 0B8F8F12
	v_cvt_f32_i32_e32 v200, v200                               // 0000000052C0: 7F900BC8
	v_cvt_f32_i32_e32 v201, v201                               // 0000000052C4: 7F920BC9
	v_cvt_f32_i32_e32 v202, v202                               // 0000000052C8: 7F940BCA
	v_cvt_f32_i32_e32 v203, v203                               // 0000000052CC: 7F960BCB
	v_mul_f32_e32 v200, v22, v200                              // 0000000052D0: 0B919116
	v_mul_f32_e32 v201, v22, v201                              // 0000000052D4: 0B939316
	v_mul_f32_e32 v202, v22, v202                              // 0000000052D8: 0B959516
	v_mul_f32_e32 v203, v22, v203                              // 0000000052DC: 0B979716
	v_mul_f32_dpp v200, v12, v200 row_newbcast:8 row_mask:0xf bank_mask:0xf// 0000000052E0: 0B9190FA FF01580C
	v_mul_f32_dpp v201, v12, v201 row_newbcast:9 row_mask:0xf bank_mask:0xf// 0000000052E8: 0B9392FA FF01590C
	v_mul_f32_dpp v202, v12, v202 row_newbcast:10 row_mask:0xf bank_mask:0xf// 0000000052F0: 0B9594FA FF015A0C
	v_mul_f32_dpp v203, v12, v203 row_newbcast:11 row_mask:0xf bank_mask:0xf// 0000000052F8: 0B9796FA FF015B0C
	v_mul_f32_e32 v200, v17, v200                              // 000000005300: 0B919111
	v_mul_f32_e32 v201, v17, v201                              // 000000005304: 0B939311
	v_mul_f32_e32 v202, v17, v202                              // 000000005308: 0B959511
	v_mul_f32_e32 v203, v17, v203                              // 00000000530C: 0B979711
	v_cvt_f32_i32_e32 v204, v204                               // 000000005310: 7F980BCC
	v_cvt_f32_i32_e32 v205, v205                               // 000000005314: 7F9A0BCD
	v_cvt_f32_i32_e32 v206, v206                               // 000000005318: 7F9C0BCE
	v_cvt_f32_i32_e32 v207, v207                               // 00000000531C: 7F9E0BCF
	v_mul_f32_e32 v204, v23, v204                              // 000000005320: 0B999917
	v_mul_f32_e32 v205, v23, v205                              // 000000005324: 0B9B9B17
	v_mul_f32_e32 v206, v23, v206                              // 000000005328: 0B9D9D17
	v_mul_f32_e32 v207, v23, v207                              // 00000000532C: 0B9F9F17
	v_mul_f32_dpp v204, v12, v204 row_newbcast:8 row_mask:0xf bank_mask:0xf// 000000005330: 0B9998FA FF01580C
	v_mul_f32_dpp v205, v12, v205 row_newbcast:9 row_mask:0xf bank_mask:0xf// 000000005338: 0B9B9AFA FF01590C
	v_mul_f32_dpp v206, v12, v206 row_newbcast:10 row_mask:0xf bank_mask:0xf// 000000005340: 0B9D9CFA FF015A0C
	v_mul_f32_dpp v207, v12, v207 row_newbcast:11 row_mask:0xf bank_mask:0xf// 000000005348: 0B9F9EFA FF015B0C
	v_mul_f32_e32 v204, v18, v204                              // 000000005350: 0B999912
	v_mul_f32_e32 v205, v18, v205                              // 000000005354: 0B9B9B12
	v_mul_f32_e32 v206, v18, v206                              // 000000005358: 0B9D9D12
	v_mul_f32_e32 v207, v18, v207                              // 00000000535C: 0B9F9F12
	v_cvt_f32_i32_e32 v208, v208                               // 000000005360: 7FA00BD0
	v_cvt_f32_i32_e32 v209, v209                               // 000000005364: 7FA20BD1
	v_cvt_f32_i32_e32 v210, v210                               // 000000005368: 7FA40BD2
	v_cvt_f32_i32_e32 v211, v211                               // 00000000536C: 7FA60BD3
	v_mul_f32_e32 v208, v22, v208                              // 000000005370: 0BA1A116
	v_mul_f32_e32 v209, v22, v209                              // 000000005374: 0BA3A316
	v_mul_f32_e32 v210, v22, v210                              // 000000005378: 0BA5A516
	v_mul_f32_e32 v211, v22, v211                              // 00000000537C: 0BA7A716
	v_mul_f32_dpp v208, v12, v208 row_newbcast:12 row_mask:0xf bank_mask:0xf// 000000005380: 0BA1A0FA FF015C0C
	v_mul_f32_dpp v209, v12, v209 row_newbcast:13 row_mask:0xf bank_mask:0xf// 000000005388: 0BA3A2FA FF015D0C
	v_mul_f32_dpp v210, v12, v210 row_newbcast:14 row_mask:0xf bank_mask:0xf// 000000005390: 0BA5A4FA FF015E0C
	v_mul_f32_dpp v211, v12, v211 row_newbcast:15 row_mask:0xf bank_mask:0xf// 000000005398: 0BA7A6FA FF015F0C
	v_mul_f32_e32 v208, v17, v208                              // 0000000053A0: 0BA1A111
	v_mul_f32_e32 v209, v17, v209                              // 0000000053A4: 0BA3A311
	v_mul_f32_e32 v210, v17, v210                              // 0000000053A8: 0BA5A511
	v_mul_f32_e32 v211, v17, v211                              // 0000000053AC: 0BA7A711
	v_cvt_f32_i32_e32 v212, v212                               // 0000000053B0: 7FA80BD4
	v_cvt_f32_i32_e32 v213, v213                               // 0000000053B4: 7FAA0BD5
	v_cvt_f32_i32_e32 v214, v214                               // 0000000053B8: 7FAC0BD6
	v_cvt_f32_i32_e32 v215, v215                               // 0000000053BC: 7FAE0BD7
	v_mul_f32_e32 v212, v23, v212                              // 0000000053C0: 0BA9A917
	v_mul_f32_e32 v213, v23, v213                              // 0000000053C4: 0BABAB17
	v_mul_f32_e32 v214, v23, v214                              // 0000000053C8: 0BADAD17
	v_mul_f32_e32 v215, v23, v215                              // 0000000053CC: 0BAFAF17
	v_mul_f32_dpp v212, v12, v212 row_newbcast:12 row_mask:0xf bank_mask:0xf// 0000000053D0: 0BA9A8FA FF015C0C
	v_mul_f32_dpp v213, v12, v213 row_newbcast:13 row_mask:0xf bank_mask:0xf// 0000000053D8: 0BABAAFA FF015D0C
	v_mul_f32_dpp v214, v12, v214 row_newbcast:14 row_mask:0xf bank_mask:0xf// 0000000053E0: 0BADACFA FF015E0C
	v_mul_f32_dpp v215, v12, v215 row_newbcast:15 row_mask:0xf bank_mask:0xf// 0000000053E8: 0BAFAEFA FF015F0C
	v_mul_f32_e32 v212, v18, v212                              // 0000000053F0: 0BA9A912
	v_mul_f32_e32 v213, v18, v213                              // 0000000053F4: 0BABAB12
	v_mul_f32_e32 v214, v18, v214                              // 0000000053F8: 0BADAD12
	v_mul_f32_e32 v215, v18, v215                              // 0000000053FC: 0BAFAF12
	v_cvt_pkrtz_f16_f32 v184, v184, v185                       // 000000005400: D29600B8 000373B8
	v_cvt_pkrtz_f16_f32 v185, v186, v187                       // 000000005408: D29600B9 000377BA
	v_cvt_pkrtz_f16_f32 v186, v188, v189                       // 000000005410: D29600BA 00037BBC
	v_cvt_pkrtz_f16_f32 v187, v190, v191                       // 000000005418: D29600BB 00037FBE
	v_cvt_pkrtz_f16_f32 v188, v192, v193                       // 000000005420: D29600BC 000383C0
	v_cvt_pkrtz_f16_f32 v189, v194, v195                       // 000000005428: D29600BD 000387C2
	v_cvt_pkrtz_f16_f32 v190, v196, v197                       // 000000005430: D29600BE 00038BC4
	v_cvt_pkrtz_f16_f32 v191, v198, v199                       // 000000005438: D29600BF 00038FC6
	v_cvt_pkrtz_f16_f32 v192, v200, v201                       // 000000005440: D29600C0 000393C8
	v_cvt_pkrtz_f16_f32 v193, v202, v203                       // 000000005448: D29600C1 000397CA
	v_cvt_pkrtz_f16_f32 v194, v204, v205                       // 000000005450: D29600C2 00039BCC
	v_cvt_pkrtz_f16_f32 v195, v206, v207                       // 000000005458: D29600C3 00039FCE
	v_cvt_pkrtz_f16_f32 v196, v208, v209                       // 000000005460: D29600C4 0003A3D0
	v_cvt_pkrtz_f16_f32 v197, v210, v211                       // 000000005468: D29600C5 0003A7D2
	v_cvt_pkrtz_f16_f32 v198, v212, v213                       // 000000005470: D29600C6 0003ABD4
	v_cvt_pkrtz_f16_f32 v199, v214, v215                       // 000000005478: D29600C7 0003AFD6
	ds_write_b64 v3, v[184:185] offset:24832                   // 000000005480: D89A6100 0000B803
	ds_write_b64 v3, v[186:187] offset:33536                   // 000000005488: D89A8300 0000BA03
	ds_write_b64 v3, v[188:189] offset:27008                   // 000000005490: D89A6980 0000BC03
	ds_write_b64 v3, v[190:191] offset:35712                   // 000000005498: D89A8B80 0000BE03
	ds_write_b64 v3, v[192:193] offset:29184                   // 0000000054A0: D89A7200 0000C003
	ds_write_b64 v3, v[194:195] offset:37888                   // 0000000054A8: D89A9400 0000C203
	ds_write_b64 v3, v[196:197] offset:31360                   // 0000000054B0: D89A7A80 0000C403
	ds_write_b64 v3, v[198:199] offset:40064                   // 0000000054B8: D89A9C80 0000C603
	s_waitcnt lgkmcnt(0)                                       // 0000000054C0: BF8CC07F
	s_barrier                                                  // 0000000054C4: BF8A0000
	ds_read_b32 v64, v4 offset:24832                           // 0000000054C8: D86C6100 40000004
	ds_read_b32 v65, v4 offset:29184                           // 0000000054D0: D86C7200 41000004
	ds_read_b32 v66, v4 offset:24864                           // 0000000054D8: D86C6120 42000004
	ds_read_b32 v67, v4 offset:29216                           // 0000000054E0: D86C7220 43000004
	ds_read_b32 v68, v4 offset:24896                           // 0000000054E8: D86C6140 44000004
	ds_read_b32 v69, v4 offset:29248                           // 0000000054F0: D86C7240 45000004
	ds_read_b32 v70, v4 offset:24928                           // 0000000054F8: D86C6160 46000004
	ds_read_b32 v71, v4 offset:29280                           // 000000005500: D86C7260 47000004
	ds_read_b32 v72, v4 offset:33536                           // 000000005508: D86C8300 48000004
	ds_read_b32 v73, v4 offset:37888                           // 000000005510: D86C9400 49000004
	ds_read_b32 v74, v4 offset:33568                           // 000000005518: D86C8320 4A000004
	ds_read_b32 v75, v4 offset:37920                           // 000000005520: D86C9420 4B000004
	ds_read_b32 v76, v4 offset:33600                           // 000000005528: D86C8340 4C000004
	ds_read_b32 v77, v4 offset:37952                           // 000000005530: D86C9440 4D000004
	ds_read_b32 v78, v4 offset:33632                           // 000000005538: D86C8360 4E000004
	ds_read_b32 v79, v4 offset:37984                           // 000000005540: D86C9460 4F000004
	s_waitcnt lgkmcnt(0)                                       // 000000005548: BF8CC07F
	s_mov_b64 exec, s[20:21]                                   // 00000000554C: BEFE0114
	global_atomic_pk_add_f16 v80, v64, s[8:9]                  // 000000005550: DD388000 00084050
	s_mov_b64 exec, s[36:37]                                   // 000000005558: BEFE0124
	s_mov_b64 exec, s[20:21]                                   // 00000000555C: BEFE0114
	global_atomic_pk_add_f16 v80, v65, s[8:9] offset:256       // 000000005560: DD388100 00084150
	s_mov_b64 exec, s[36:37]                                   // 000000005568: BEFE0124
	s_mov_b64 exec, s[22:23]                                   // 00000000556C: BEFE0116
	global_atomic_pk_add_f16 v82, v66, s[8:9]                  // 000000005570: DD388000 00084252
	s_mov_b64 exec, s[36:37]                                   // 000000005578: BEFE0124
	s_mov_b64 exec, s[22:23]                                   // 00000000557C: BEFE0116
	global_atomic_pk_add_f16 v82, v67, s[8:9] offset:256       // 000000005580: DD388100 00084352
	s_mov_b64 exec, s[36:37]                                   // 000000005588: BEFE0124
	s_mov_b64 exec, s[24:25]                                   // 00000000558C: BEFE0118
	global_atomic_pk_add_f16 v84, v68, s[8:9]                  // 000000005590: DD388000 00084454
	s_mov_b64 exec, s[36:37]                                   // 000000005598: BEFE0124
	s_mov_b64 exec, s[24:25]                                   // 00000000559C: BEFE0118
	global_atomic_pk_add_f16 v84, v69, s[8:9] offset:256       // 0000000055A0: DD388100 00084554
	s_mov_b64 exec, s[36:37]                                   // 0000000055A8: BEFE0124
	s_mov_b64 exec, s[26:27]                                   // 0000000055AC: BEFE011A
	global_atomic_pk_add_f16 v86, v70, s[8:9]                  // 0000000055B0: DD388000 00084656
	s_mov_b64 exec, s[36:37]                                   // 0000000055B8: BEFE0124
	s_mov_b64 exec, s[26:27]                                   // 0000000055BC: BEFE011A
	global_atomic_pk_add_f16 v86, v71, s[8:9] offset:256       // 0000000055C0: DD388100 00084756
	s_mov_b64 exec, s[36:37]                                   // 0000000055C8: BEFE0124
	s_mov_b64 exec, s[28:29]                                   // 0000000055CC: BEFE011C
	global_atomic_pk_add_f16 v88, v72, s[8:9]                  // 0000000055D0: DD388000 00084858
	s_mov_b64 exec, s[36:37]                                   // 0000000055D8: BEFE0124
	s_mov_b64 exec, s[28:29]                                   // 0000000055DC: BEFE011C
	global_atomic_pk_add_f16 v88, v73, s[8:9] offset:256       // 0000000055E0: DD388100 00084958
	s_mov_b64 exec, s[36:37]                                   // 0000000055E8: BEFE0124
	s_mov_b64 exec, s[30:31]                                   // 0000000055EC: BEFE011E
	global_atomic_pk_add_f16 v90, v74, s[8:9]                  // 0000000055F0: DD388000 00084A5A
	s_mov_b64 exec, s[36:37]                                   // 0000000055F8: BEFE0124
	s_mov_b64 exec, s[30:31]                                   // 0000000055FC: BEFE011E
	global_atomic_pk_add_f16 v90, v75, s[8:9] offset:256       // 000000005600: DD388100 00084B5A
	s_mov_b64 exec, s[36:37]                                   // 000000005608: BEFE0124
	s_mov_b64 exec, s[32:33]                                   // 00000000560C: BEFE0120
	global_atomic_pk_add_f16 v92, v76, s[8:9]                  // 000000005610: DD388000 00084C5C
	s_mov_b64 exec, s[36:37]                                   // 000000005618: BEFE0124
	s_mov_b64 exec, s[32:33]                                   // 00000000561C: BEFE0120
	global_atomic_pk_add_f16 v92, v77, s[8:9] offset:256       // 000000005620: DD388100 00084D5C
	s_mov_b64 exec, s[36:37]                                   // 000000005628: BEFE0124
	s_mov_b64 exec, s[34:35]                                   // 00000000562C: BEFE0122
	global_atomic_pk_add_f16 v94, v78, s[8:9]                  // 000000005630: DD388000 00084E5E
	s_mov_b64 exec, s[36:37]                                   // 000000005638: BEFE0124
	s_mov_b64 exec, s[34:35]                                   // 00000000563C: BEFE0122
	global_atomic_pk_add_f16 v94, v79, s[8:9] offset:256       // 000000005640: DD388100 00084F5E
	s_mov_b64 exec, s[36:37]                                   // 000000005648: BEFE0124
	s_add_u32 s8, s59, s8                                      // 00000000564C: 8008083B
	s_addc_u32 s9, 0, s9                                       // 000000005650: 82090980
	s_addk_i32 s80, 0x100                                      // 000000005654: B7500100
	s_cmp_lt_i32 s80, s81                                      // 000000005658: BF045150
	s_cbranch_scc0 label_0A19                                  // 00000000565C: BF840001
	s_branch label_0690                                        // 000000005660: BF82FC77

0000000000005664 <label_0A19>:
	s_nop 0                                                    // 000000005664: BF800000
	s_nop 0                                                    // 000000005668: BF800000
	s_branch label_11E6                                        // 00000000566C: BF8207CA

0000000000005670 <label_0A1C>:
	s_waitcnt vmcnt(4) lgkmcnt(0)                              // 000000005670: BF8C0074
	s_barrier                                                  // 000000005674: BF8A0000
	v_mfma_i32_16x16x32_i8 v[128:131], a[0:1], v[152:153], v[128:131]// 000000005678: D3D70080 0E033100
	buffer_load_dwordx4 a[48:51], v32, s[24:27], 0 offen       // 000000005680: E05C1000 80863020
	v_mfma_i32_16x16x32_i8 v[128:131], a[2:3], v[154:155], v[128:131]// 000000005688: D3D70080 0E033502
	v_mfma_i32_16x16x32_i8 v[128:131], a[4:5], v[156:157], v[128:131]// 000000005690: D3D70080 0E033904
	buffer_load_dword v24, s[20:23], 0 offen lds               // 000000005698: E0511000 80050018
	s_add_u32 m0, 0x100, s50                                   // 0000000056A0: 807C32FF 00000100
	v_mfma_i32_16x16x32_i8 v[128:131], a[6:7], v[158:159], v[128:131]// 0000000056A8: D3D70080 0E033D06
	v_mfma_i32_16x16x32_i8 v[128:131], a[8:9], v[160:161], v[128:131]// 0000000056B0: D3D70080 0E034108
	buffer_load_dwordx4 a[52:55], v32, s[24:27], 0 offen offset:1024// 0000000056B8: E05C1400 80863420
	v_mfma_i32_16x16x32_i8 v[128:131], a[10:11], v[162:163], v[128:131]// 0000000056C0: D3D70080 0E03450A
	v_mfma_i32_16x16x32_i8 v[128:131], a[12:13], v[164:165], v[128:131]// 0000000056C8: D3D70080 0E03490C
	buffer_load_dword v25, s[20:23], 0 offen lds               // 0000000056D0: E0511000 80050019
	s_add_u32 m0, 0x200, s50                                   // 0000000056D8: 807C32FF 00000200
	v_mfma_i32_16x16x32_i8 v[128:131], a[14:15], v[166:167], v[128:131]// 0000000056E0: D3D70080 0E034D0E
	v_mfma_i32_16x16x32_i8 v[132:135], a[0:1], v[168:169], v[132:135]// 0000000056E8: D3D70084 0E135100
	buffer_load_dwordx4 a[56:59], v32, s[24:27], 0 offen offset:2048// 0000000056F0: E05C1800 80863820
	v_mfma_i32_16x16x32_i8 v[132:135], a[2:3], v[170:171], v[132:135]// 0000000056F8: D3D70084 0E135502
	v_mfma_i32_16x16x32_i8 v[132:135], a[4:5], v[172:173], v[132:135]// 000000005700: D3D70084 0E135904
	buffer_load_dword v26, s[20:23], 0 offen lds               // 000000005708: E0511000 8005001A
	s_add_u32 m0, 0x300, s50                                   // 000000005710: 807C32FF 00000300
	v_mfma_i32_16x16x32_i8 v[132:135], a[6:7], v[174:175], v[132:135]// 000000005718: D3D70084 0E135D06
	v_mfma_i32_16x16x32_i8 v[132:135], a[8:9], v[176:177], v[132:135]// 000000005720: D3D70084 0E136108
	buffer_load_dwordx4 a[60:63], v32, s[24:27], 0 offen offset:3072// 000000005728: E05C1C00 80863C20
	v_mfma_i32_16x16x32_i8 v[132:135], a[10:11], v[178:179], v[132:135]// 000000005730: D3D70084 0E13650A
	v_mfma_i32_16x16x32_i8 v[132:135], a[12:13], v[180:181], v[132:135]// 000000005738: D3D70084 0E13690C
	buffer_load_dword v27, s[20:23], 0 offen lds               // 000000005740: E0511000 8005001B
	s_add_u32 m0, 0x400, s50                                   // 000000005748: 807C32FF 00000400
	v_mfma_i32_16x16x32_i8 v[132:135], a[14:15], v[182:183], v[132:135]// 000000005750: D3D70084 0E136D0E
	v_mfma_i32_16x16x32_i8 v[136:139], a[16:17], v[152:153], v[136:139]// 000000005758: D3D70088 0E233110
	buffer_load_dwordx4 a[64:67], v33, s[24:27], 0 offen       // 000000005760: E05C1000 80864021
	v_mfma_i32_16x16x32_i8 v[136:139], a[18:19], v[154:155], v[136:139]// 000000005768: D3D70088 0E233512
	v_mfma_i32_16x16x32_i8 v[136:139], a[20:21], v[156:157], v[136:139]// 000000005770: D3D70088 0E233914
	buffer_load_dword v28, s[20:23], 0 offen lds               // 000000005778: E0511000 8005001C
	s_add_u32 m0, 0x500, s50                                   // 000000005780: 807C32FF 00000500
	ds_read_b128 v[184:187], v2 offset:8320                    // 000000005788: D9FE2080 B8000002
	v_mfma_i32_16x16x32_i8 v[136:139], a[22:23], v[158:159], v[136:139]// 000000005790: D3D70088 0E233D16
	v_mfma_i32_16x16x32_i8 v[136:139], a[24:25], v[160:161], v[136:139]// 000000005798: D3D70088 0E234118
	buffer_load_dwordx4 a[68:71], v33, s[24:27], 0 offen offset:1024// 0000000057A0: E05C1400 80864421
	v_mfma_i32_16x16x32_i8 v[136:139], a[26:27], v[162:163], v[136:139]// 0000000057A8: D3D70088 0E23451A
	v_mfma_i32_16x16x32_i8 v[136:139], a[28:29], v[164:165], v[136:139]// 0000000057B0: D3D70088 0E23491C
	buffer_load_dword v29, s[20:23], 0 offen lds               // 0000000057B8: E0511000 8005001D
	s_add_u32 m0, 0x600, s50                                   // 0000000057C0: 807C32FF 00000600
	ds_read_b128 v[188:191], v2 offset:8384                    // 0000000057C8: D9FE20C0 BC000002
	v_mfma_i32_16x16x32_i8 v[136:139], a[30:31], v[166:167], v[136:139]// 0000000057D0: D3D70088 0E234D1E
	v_mfma_i32_16x16x32_i8 v[140:143], a[16:17], v[168:169], v[140:143]// 0000000057D8: D3D7008C 0E335110
	buffer_load_dwordx4 a[72:75], v33, s[24:27], 0 offen offset:2048// 0000000057E0: E05C1800 80864821
	v_mfma_i32_16x16x32_i8 v[140:143], a[18:19], v[170:171], v[140:143]// 0000000057E8: D3D7008C 0E335512
	v_mfma_i32_16x16x32_i8 v[140:143], a[20:21], v[172:173], v[140:143]// 0000000057F0: D3D7008C 0E335914
	buffer_load_dword v30, s[20:23], 0 offen lds               // 0000000057F8: E0511000 8005001E
	s_add_u32 m0, 0x700, s50                                   // 000000005800: 807C32FF 00000700
	ds_read_b128 v[192:195], v2 offset:8448                    // 000000005808: D9FE2100 C0000002
	v_mfma_i32_16x16x32_i8 v[140:143], a[22:23], v[174:175], v[140:143]// 000000005810: D3D7008C 0E335D16
	v_mfma_i32_16x16x32_i8 v[140:143], a[24:25], v[176:177], v[140:143]// 000000005818: D3D7008C 0E336118
	buffer_load_dwordx4 a[76:79], v33, s[24:27], 0 offen offset:3072// 000000005820: E05C1C00 80864C21
	v_mfma_i32_16x16x32_i8 v[140:143], a[26:27], v[178:179], v[140:143]// 000000005828: D3D7008C 0E33651A
	v_mfma_i32_16x16x32_i8 v[140:143], a[28:29], v[180:181], v[140:143]// 000000005830: D3D7008C 0E33691C
	buffer_load_dword v31, s[20:23], 0 offen lds               // 000000005838: E0511000 8005001F
	s_add_u32 m0, 0, s51                                       // 000000005840: 807C3380
	ds_read_b128 v[196:199], v2 offset:8512                    // 000000005844: D9FE2140 C4000002
	v_mfma_i32_16x16x32_i8 v[140:143], a[30:31], v[182:183], v[140:143]// 00000000584C: D3D7008C 0E336D1E
	s_waitcnt vmcnt(16)                                        // 000000005854: BF8C4F70
	v_mfma_i32_16x16x32_i8 v[144:147], a[32:33], v[152:153], v[144:147]// 000000005858: D3D70090 0E433120
	buffer_load_dwordx4 a[80:83], v34, s[24:27], 0 offen       // 000000005860: E05C1000 80865022
	v_mfma_i32_16x16x32_i8 v[144:147], a[34:35], v[154:155], v[144:147]// 000000005868: D3D70090 0E433522
	v_mfma_i32_16x16x32_i8 v[144:147], a[36:37], v[156:157], v[144:147]// 000000005870: D3D70090 0E433924
	ds_read_b128 v[200:203], v2 offset:9344                    // 000000005878: D9FE2480 C8000002
	v_mfma_i32_16x16x32_i8 v[144:147], a[38:39], v[158:159], v[144:147]// 000000005880: D3D70090 0E433D26
	v_mfma_i32_16x16x32_i8 v[144:147], a[40:41], v[160:161], v[144:147]// 000000005888: D3D70090 0E434128
	buffer_load_dwordx4 a[84:87], v34, s[24:27], 0 offen offset:1024// 000000005890: E05C1400 80865422
	v_mfma_i32_16x16x32_i8 v[144:147], a[42:43], v[162:163], v[144:147]// 000000005898: D3D70090 0E43452A
	v_mfma_i32_16x16x32_i8 v[144:147], a[44:45], v[164:165], v[144:147]// 0000000058A0: D3D70090 0E43492C
	ds_read_b128 v[204:207], v2 offset:9408                    // 0000000058A8: D9FE24C0 CC000002
	v_mfma_i32_16x16x32_i8 v[144:147], a[46:47], v[166:167], v[144:147]// 0000000058B0: D3D70090 0E434D2E
	v_mfma_i32_16x16x32_i8 v[148:151], a[32:33], v[168:169], v[148:151]// 0000000058B8: D3D70094 0E535120
	buffer_load_dwordx4 a[88:91], v34, s[24:27], 0 offen offset:2048// 0000000058C0: E05C1800 80865822
	v_mfma_i32_16x16x32_i8 v[148:151], a[34:35], v[170:171], v[148:151]// 0000000058C8: D3D70094 0E535522
	v_mfma_i32_16x16x32_i8 v[148:151], a[36:37], v[172:173], v[148:151]// 0000000058D0: D3D70094 0E535924
	ds_read_b128 v[208:211], v2 offset:9472                    // 0000000058D8: D9FE2500 D0000002
	v_mfma_i32_16x16x32_i8 v[148:151], a[38:39], v[174:175], v[148:151]// 0000000058E0: D3D70094 0E535D26
	v_mfma_i32_16x16x32_i8 v[148:151], a[40:41], v[176:177], v[148:151]// 0000000058E8: D3D70094 0E536128
	buffer_load_dwordx4 a[92:95], v34, s[24:27], 0 offen offset:3072// 0000000058F0: E05C1C00 80865C22
	v_mfma_i32_16x16x32_i8 v[148:151], a[42:43], v[178:179], v[148:151]// 0000000058F8: D3D70094 0E53652A
	v_mfma_i32_16x16x32_i8 v[148:151], a[44:45], v[180:181], v[148:151]// 000000005900: D3D70094 0E53692C
	ds_read_b128 v[212:215], v2 offset:9536                    // 000000005908: D9FE2540 D4000002
	v_mfma_i32_16x16x32_i8 v[148:151], a[46:47], v[182:183], v[148:151]// 000000005910: D3D70094 0E536D2E
	s_add_u32 s60, 0x300, s80                                  // 000000005918: 803C50FF 00000300
	s_cmp_lt_u32 s60, s81                                      // 000000005920: BF0A513C
	s_cselect_b32 s57, s57, 0                                  // 000000005924: 85398039
	s_add_u32 s60, 0x200, s80                                  // 000000005928: 803C50FF 00000200
	s_cmp_lt_u32 s60, s81                                      // 000000005930: BF0A513C
	s_cselect_b32 s58, s58, 0                                  // 000000005934: 853A803A
	s_add_u32 s20, s57, s20                                    // 000000005938: 80141439
	s_addc_u32 s21, 0, s21                                     // 00000000593C: 82151580
	s_add_u32 s24, s58, s24                                    // 000000005940: 8018183A
	s_addc_u32 s25, 0, s25                                     // 000000005944: 82191980
	s_addk_i32 s80, 0x100                                      // 000000005948: B7500100
	s_cmp_lt_i32 s80, s81                                      // 00000000594C: BF045150
	s_cbranch_scc0 label_0B8F                                  // 000000005950: BF8400BA
	s_waitcnt vmcnt(4) lgkmcnt(0)                              // 000000005954: BF8C0074
	s_barrier                                                  // 000000005958: BF8A0000
	v_mfma_i32_16x16x32_i8 v[128:131], a[48:49], v[184:185], v[128:131]// 00000000595C: D3D70080 0E037130
	buffer_load_dwordx4 a[0:3], v32, s[24:27], 0 offen         // 000000005964: E05C1000 80860020
	v_mfma_i32_16x16x32_i8 v[128:131], a[50:51], v[186:187], v[128:131]// 00000000596C: D3D70080 0E037532
	v_mfma_i32_16x16x32_i8 v[128:131], a[52:53], v[188:189], v[128:131]// 000000005974: D3D70080 0E037934
	buffer_load_dword v24, s[20:23], 0 offen lds               // 00000000597C: E0511000 80050018
	s_add_u32 m0, 0x100, s51                                   // 000000005984: 807C33FF 00000100
	v_mfma_i32_16x16x32_i8 v[128:131], a[54:55], v[190:191], v[128:131]// 00000000598C: D3D70080 0E037D36
	v_mfma_i32_16x16x32_i8 v[128:131], a[56:57], v[192:193], v[128:131]// 000000005994: D3D70080 0E038138
	buffer_load_dwordx4 a[4:7], v32, s[24:27], 0 offen offset:1024// 00000000599C: E05C1400 80860420
	v_mfma_i32_16x16x32_i8 v[128:131], a[58:59], v[194:195], v[128:131]// 0000000059A4: D3D70080 0E03853A
	v_mfma_i32_16x16x32_i8 v[128:131], a[60:61], v[196:197], v[128:131]// 0000000059AC: D3D70080 0E03893C
	buffer_load_dword v25, s[20:23], 0 offen lds               // 0000000059B4: E0511000 80050019
	s_add_u32 m0, 0x200, s51                                   // 0000000059BC: 807C33FF 00000200
	v_mfma_i32_16x16x32_i8 v[128:131], a[62:63], v[198:199], v[128:131]// 0000000059C4: D3D70080 0E038D3E
	v_mfma_i32_16x16x32_i8 v[132:135], a[48:49], v[200:201], v[132:135]// 0000000059CC: D3D70084 0E139130
	buffer_load_dwordx4 a[8:11], v32, s[24:27], 0 offen offset:2048// 0000000059D4: E05C1800 80860820
	v_mfma_i32_16x16x32_i8 v[132:135], a[50:51], v[202:203], v[132:135]// 0000000059DC: D3D70084 0E139532
	v_mfma_i32_16x16x32_i8 v[132:135], a[52:53], v[204:205], v[132:135]// 0000000059E4: D3D70084 0E139934
	buffer_load_dword v26, s[20:23], 0 offen lds               // 0000000059EC: E0511000 8005001A
	s_add_u32 m0, 0x300, s51                                   // 0000000059F4: 807C33FF 00000300
	v_mfma_i32_16x16x32_i8 v[132:135], a[54:55], v[206:207], v[132:135]// 0000000059FC: D3D70084 0E139D36
	v_mfma_i32_16x16x32_i8 v[132:135], a[56:57], v[208:209], v[132:135]// 000000005A04: D3D70084 0E13A138
	buffer_load_dwordx4 a[12:15], v32, s[24:27], 0 offen offset:3072// 000000005A0C: E05C1C00 80860C20
	v_mfma_i32_16x16x32_i8 v[132:135], a[58:59], v[210:211], v[132:135]// 000000005A14: D3D70084 0E13A53A
	v_mfma_i32_16x16x32_i8 v[132:135], a[60:61], v[212:213], v[132:135]// 000000005A1C: D3D70084 0E13A93C
	buffer_load_dword v27, s[20:23], 0 offen lds               // 000000005A24: E0511000 8005001B
	s_add_u32 m0, 0x400, s51                                   // 000000005A2C: 807C33FF 00000400
	v_mfma_i32_16x16x32_i8 v[132:135], a[62:63], v[214:215], v[132:135]// 000000005A34: D3D70084 0E13AD3E
	v_mfma_i32_16x16x32_i8 v[136:139], a[64:65], v[184:185], v[136:139]// 000000005A3C: D3D70088 0E237140
	buffer_load_dwordx4 a[16:19], v33, s[24:27], 0 offen       // 000000005A44: E05C1000 80861021
	v_mfma_i32_16x16x32_i8 v[136:139], a[66:67], v[186:187], v[136:139]// 000000005A4C: D3D70088 0E237542
	v_mfma_i32_16x16x32_i8 v[136:139], a[68:69], v[188:189], v[136:139]// 000000005A54: D3D70088 0E237944
	buffer_load_dword v28, s[20:23], 0 offen lds               // 000000005A5C: E0511000 8005001C
	s_add_u32 m0, 0x500, s51                                   // 000000005A64: 807C33FF 00000500
	ds_read_b128 v[152:155], v2                                // 000000005A6C: D9FE0000 98000002
	v_mfma_i32_16x16x32_i8 v[136:139], a[70:71], v[190:191], v[136:139]// 000000005A74: D3D70088 0E237D46
	v_mfma_i32_16x16x32_i8 v[136:139], a[72:73], v[192:193], v[136:139]// 000000005A7C: D3D70088 0E238148
	buffer_load_dwordx4 a[20:23], v33, s[24:27], 0 offen offset:1024// 000000005A84: E05C1400 80861421
	v_mfma_i32_16x16x32_i8 v[136:139], a[74:75], v[194:195], v[136:139]// 000000005A8C: D3D70088 0E23854A
	v_mfma_i32_16x16x32_i8 v[136:139], a[76:77], v[196:197], v[136:139]// 000000005A94: D3D70088 0E23894C
	buffer_load_dword v29, s[20:23], 0 offen lds               // 000000005A9C: E0511000 8005001D
	s_add_u32 m0, 0x600, s51                                   // 000000005AA4: 807C33FF 00000600
	ds_read_b128 v[156:159], v2 offset:64                      // 000000005AAC: D9FE0040 9C000002
	v_mfma_i32_16x16x32_i8 v[136:139], a[78:79], v[198:199], v[136:139]// 000000005AB4: D3D70088 0E238D4E
	v_mfma_i32_16x16x32_i8 v[140:143], a[64:65], v[200:201], v[140:143]// 000000005ABC: D3D7008C 0E339140
	buffer_load_dwordx4 a[24:27], v33, s[24:27], 0 offen offset:2048// 000000005AC4: E05C1800 80861821
	v_mfma_i32_16x16x32_i8 v[140:143], a[66:67], v[202:203], v[140:143]// 000000005ACC: D3D7008C 0E339542
	v_mfma_i32_16x16x32_i8 v[140:143], a[68:69], v[204:205], v[140:143]// 000000005AD4: D3D7008C 0E339944
	buffer_load_dword v30, s[20:23], 0 offen lds               // 000000005ADC: E0511000 8005001E
	s_add_u32 m0, 0x700, s51                                   // 000000005AE4: 807C33FF 00000700
	ds_read_b128 v[160:163], v2 offset:128                     // 000000005AEC: D9FE0080 A0000002
	v_mfma_i32_16x16x32_i8 v[140:143], a[70:71], v[206:207], v[140:143]// 000000005AF4: D3D7008C 0E339D46
	v_mfma_i32_16x16x32_i8 v[140:143], a[72:73], v[208:209], v[140:143]// 000000005AFC: D3D7008C 0E33A148
	buffer_load_dwordx4 a[28:31], v33, s[24:27], 0 offen offset:3072// 000000005B04: E05C1C00 80861C21
	v_mfma_i32_16x16x32_i8 v[140:143], a[74:75], v[210:211], v[140:143]// 000000005B0C: D3D7008C 0E33A54A
	v_mfma_i32_16x16x32_i8 v[140:143], a[76:77], v[212:213], v[140:143]// 000000005B14: D3D7008C 0E33A94C
	buffer_load_dword v31, s[20:23], 0 offen lds               // 000000005B1C: E0511000 8005001F
	s_add_u32 m0, 0, s50                                       // 000000005B24: 807C3280
	ds_read_b128 v[164:167], v2 offset:192                     // 000000005B28: D9FE00C0 A4000002
	v_mfma_i32_16x16x32_i8 v[140:143], a[78:79], v[214:215], v[140:143]// 000000005B30: D3D7008C 0E33AD4E
	s_waitcnt vmcnt(16)                                        // 000000005B38: BF8C4F70
	v_mfma_i32_16x16x32_i8 v[144:147], a[80:81], v[184:185], v[144:147]// 000000005B3C: D3D70090 0E437150
	buffer_load_dwordx4 a[32:35], v34, s[24:27], 0 offen       // 000000005B44: E05C1000 80862022
	v_mfma_i32_16x16x32_i8 v[144:147], a[82:83], v[186:187], v[144:147]// 000000005B4C: D3D70090 0E437552
	v_mfma_i32_16x16x32_i8 v[144:147], a[84:85], v[188:189], v[144:147]// 000000005B54: D3D70090 0E437954
	ds_read_b128 v[168:171], v2 offset:1024                    // 000000005B5C: D9FE0400 A8000002
	v_mfma_i32_16x16x32_i8 v[144:147], a[86:87], v[190:191], v[144:147]// 000000005B64: D3D70090 0E437D56
	v_mfma_i32_16x16x32_i8 v[144:147], a[88:89], v[192:193], v[144:147]// 000000005B6C: D3D70090 0E438158
	buffer_load_dwordx4 a[36:39], v34, s[24:27], 0 offen offset:1024// 000000005B74: E05C1400 80862422
	v_mfma_i32_16x16x32_i8 v[144:147], a[90:91], v[194:195], v[144:147]// 000000005B7C: D3D70090 0E43855A
	v_mfma_i32_16x16x32_i8 v[144:147], a[92:93], v[196:197], v[144:147]// 000000005B84: D3D70090 0E43895C
	ds_read_b128 v[172:175], v2 offset:1088                    // 000000005B8C: D9FE0440 AC000002
	v_mfma_i32_16x16x32_i8 v[144:147], a[94:95], v[198:199], v[144:147]// 000000005B94: D3D70090 0E438D5E
	v_mfma_i32_16x16x32_i8 v[148:151], a[80:81], v[200:201], v[148:151]// 000000005B9C: D3D70094 0E539150
	buffer_load_dwordx4 a[40:43], v34, s[24:27], 0 offen offset:2048// 000000005BA4: E05C1800 80862822
	v_mfma_i32_16x16x32_i8 v[148:151], a[82:83], v[202:203], v[148:151]// 000000005BAC: D3D70094 0E539552
	v_mfma_i32_16x16x32_i8 v[148:151], a[84:85], v[204:205], v[148:151]// 000000005BB4: D3D70094 0E539954
	ds_read_b128 v[176:179], v2 offset:1152                    // 000000005BBC: D9FE0480 B0000002
	v_mfma_i32_16x16x32_i8 v[148:151], a[86:87], v[206:207], v[148:151]// 000000005BC4: D3D70094 0E539D56
	v_mfma_i32_16x16x32_i8 v[148:151], a[88:89], v[208:209], v[148:151]// 000000005BCC: D3D70094 0E53A158
	buffer_load_dwordx4 a[44:47], v34, s[24:27], 0 offen offset:3072// 000000005BD4: E05C1C00 80862C22
	v_mfma_i32_16x16x32_i8 v[148:151], a[90:91], v[210:211], v[148:151]// 000000005BDC: D3D70094 0E53A55A
	v_mfma_i32_16x16x32_i8 v[148:151], a[92:93], v[212:213], v[148:151]// 000000005BE4: D3D70094 0E53A95C
	ds_read_b128 v[180:183], v2 offset:1216                    // 000000005BEC: D9FE04C0 B4000002
	v_mfma_i32_16x16x32_i8 v[148:151], a[94:95], v[214:215], v[148:151]// 000000005BF4: D3D70094 0E53AD5E
	s_add_u32 s60, 0x300, s80                                  // 000000005BFC: 803C50FF 00000300
	s_cmp_lt_u32 s60, s81                                      // 000000005C04: BF0A513C
	s_cselect_b32 s57, s57, 0                                  // 000000005C08: 85398039
	s_add_u32 s60, 0x200, s80                                  // 000000005C0C: 803C50FF 00000200
	s_cmp_lt_u32 s60, s81                                      // 000000005C14: BF0A513C
	s_cselect_b32 s58, s58, 0                                  // 000000005C18: 853A803A
	s_add_u32 s20, s57, s20                                    // 000000005C1C: 80141439
	s_addc_u32 s21, 0, s21                                     // 000000005C20: 82151580
	s_add_u32 s24, s58, s24                                    // 000000005C24: 8018183A
	s_addc_u32 s25, 0, s25                                     // 000000005C28: 82191980
	s_addk_i32 s80, 0x100                                      // 000000005C2C: B7500100
	s_cmp_lt_i32 s80, s81                                      // 000000005C30: BF045150
	s_cbranch_scc0 label_0B8F                                  // 000000005C34: BF840001
	s_branch label_0A1C                                        // 000000005C38: BF82FE8D

0000000000005c3c <label_0B8F>:
	s_mov_b32 s36, -1                                          // 000000005C3C: BEA400C1
	s_mov_b32 s37, -1                                          // 000000005C40: BEA500C1
	s_mov_b64 s[60:61], 0                                      // 000000005C44: BEBC0180
	s_cmp_lt_u32 s82, s66                                      // 000000005C48: BF0A4252
	s_cselect_b64 s[20:21], s[36:37], s[60:61]                 // 000000005C4C: 85943C24
	s_cmp_lt_u32 s83, s66                                      // 000000005C50: BF0A4253
	s_cselect_b64 s[22:23], s[36:37], s[60:61]                 // 000000005C54: 85963C24
	s_cmp_lt_u32 s84, s66                                      // 000000005C58: BF0A4254
	s_cselect_b64 s[24:25], s[36:37], s[60:61]                 // 000000005C5C: 85983C24
	s_cmp_lt_u32 s85, s66                                      // 000000005C60: BF0A4255
	s_cselect_b64 s[26:27], s[36:37], s[60:61]                 // 000000005C64: 859A3C24
	s_cmp_lt_u32 s86, s66                                      // 000000005C68: BF0A4256
	s_cselect_b64 s[28:29], s[36:37], s[60:61]                 // 000000005C6C: 859C3C24
	s_cmp_lt_u32 s87, s66                                      // 000000005C70: BF0A4257
	s_cselect_b64 s[30:31], s[36:37], s[60:61]                 // 000000005C74: 859E3C24
	s_cmp_lt_u32 s88, s66                                      // 000000005C78: BF0A4258
	s_cselect_b64 s[32:33], s[36:37], s[60:61]                 // 000000005C7C: 85A03C24
	s_cmp_lt_u32 s89, s66                                      // 000000005C80: BF0A4259
	s_cselect_b64 s[34:35], s[36:37], s[60:61]                 // 000000005C84: 85A23C24
	v_cvt_f32_i32_e32 v128, v128                               // 000000005C88: 7F000B80
	v_cvt_f32_i32_e32 v129, v129                               // 000000005C8C: 7F020B81
	v_cvt_f32_i32_e32 v130, v130                               // 000000005C90: 7F040B82
	v_cvt_f32_i32_e32 v131, v131                               // 000000005C94: 7F060B83
	v_mul_f32_e32 v128, v13, v128                              // 000000005C98: 0B01010D
	v_mul_f32_e32 v129, v13, v129                              // 000000005C9C: 0B03030D
	v_mul_f32_e32 v130, v13, v130                              // 000000005CA0: 0B05050D
	v_mul_f32_e32 v131, v13, v131                              // 000000005CA4: 0B07070D
	v_mul_f32_dpp v128, v15, v128 row_newbcast:0 row_mask:0xf bank_mask:0xf// 000000005CA8: 0B0100FA FF01500F
	v_mul_f32_dpp v129, v15, v129 row_newbcast:1 row_mask:0xf bank_mask:0xf// 000000005CB0: 0B0302FA FF01510F
	v_mul_f32_dpp v130, v15, v130 row_newbcast:2 row_mask:0xf bank_mask:0xf// 000000005CB8: 0B0504FA FF01520F
	v_mul_f32_dpp v131, v15, v131 row_newbcast:3 row_mask:0xf bank_mask:0xf// 000000005CC0: 0B0706FA FF01530F
	v_cvt_f32_i32_e32 v132, v132                               // 000000005CC8: 7F080B84
	v_cvt_f32_i32_e32 v133, v133                               // 000000005CCC: 7F0A0B85
	v_cvt_f32_i32_e32 v134, v134                               // 000000005CD0: 7F0C0B86
	v_cvt_f32_i32_e32 v135, v135                               // 000000005CD4: 7F0E0B87
	v_mul_f32_e32 v132, v14, v132                              // 000000005CD8: 0B09090E
	v_mul_f32_e32 v133, v14, v133                              // 000000005CDC: 0B0B0B0E
	v_mul_f32_e32 v134, v14, v134                              // 000000005CE0: 0B0D0D0E
	v_mul_f32_e32 v135, v14, v135                              // 000000005CE4: 0B0F0F0E
	v_mul_f32_dpp v132, v15, v132 row_newbcast:0 row_mask:0xf bank_mask:0xf// 000000005CE8: 0B0908FA FF01500F
	v_mul_f32_dpp v133, v15, v133 row_newbcast:1 row_mask:0xf bank_mask:0xf// 000000005CF0: 0B0B0AFA FF01510F
	v_mul_f32_dpp v134, v15, v134 row_newbcast:2 row_mask:0xf bank_mask:0xf// 000000005CF8: 0B0D0CFA FF01520F
	v_mul_f32_dpp v135, v15, v135 row_newbcast:3 row_mask:0xf bank_mask:0xf// 000000005D00: 0B0F0EFA FF01530F
	v_cvt_f32_i32_e32 v136, v136                               // 000000005D08: 7F100B88
	v_cvt_f32_i32_e32 v137, v137                               // 000000005D0C: 7F120B89
	v_cvt_f32_i32_e32 v138, v138                               // 000000005D10: 7F140B8A
	v_cvt_f32_i32_e32 v139, v139                               // 000000005D14: 7F160B8B
	v_mul_f32_e32 v136, v13, v136                              // 000000005D18: 0B11110D
	v_mul_f32_e32 v137, v13, v137                              // 000000005D1C: 0B13130D
	v_mul_f32_e32 v138, v13, v138                              // 000000005D20: 0B15150D
	v_mul_f32_e32 v139, v13, v139                              // 000000005D24: 0B17170D
	v_mul_f32_dpp v136, v15, v136 row_newbcast:4 row_mask:0xf bank_mask:0xf// 000000005D28: 0B1110FA FF01540F
	v_mul_f32_dpp v137, v15, v137 row_newbcast:5 row_mask:0xf bank_mask:0xf// 000000005D30: 0B1312FA FF01550F
	v_mul_f32_dpp v138, v15, v138 row_newbcast:6 row_mask:0xf bank_mask:0xf// 000000005D38: 0B1514FA FF01560F
	v_mul_f32_dpp v139, v15, v139 row_newbcast:7 row_mask:0xf bank_mask:0xf// 000000005D40: 0B1716FA FF01570F
	v_cvt_f32_i32_e32 v140, v140                               // 000000005D48: 7F180B8C
	v_cvt_f32_i32_e32 v141, v141                               // 000000005D4C: 7F1A0B8D
	v_cvt_f32_i32_e32 v142, v142                               // 000000005D50: 7F1C0B8E
	v_cvt_f32_i32_e32 v143, v143                               // 000000005D54: 7F1E0B8F
	v_mul_f32_e32 v140, v14, v140                              // 000000005D58: 0B19190E
	v_mul_f32_e32 v141, v14, v141                              // 000000005D5C: 0B1B1B0E
	v_mul_f32_e32 v142, v14, v142                              // 000000005D60: 0B1D1D0E
	v_mul_f32_e32 v143, v14, v143                              // 000000005D64: 0B1F1F0E
	v_mul_f32_dpp v140, v15, v140 row_newbcast:4 row_mask:0xf bank_mask:0xf// 000000005D68: 0B1918FA FF01540F
	v_mul_f32_dpp v141, v15, v141 row_newbcast:5 row_mask:0xf bank_mask:0xf// 000000005D70: 0B1B1AFA FF01550F
	v_mul_f32_dpp v142, v15, v142 row_newbcast:6 row_mask:0xf bank_mask:0xf// 000000005D78: 0B1D1CFA FF01560F
	v_mul_f32_dpp v143, v15, v143 row_newbcast:7 row_mask:0xf bank_mask:0xf// 000000005D80: 0B1F1EFA FF01570F
	v_cvt_f32_i32_e32 v144, v144                               // 000000005D88: 7F200B90
	v_cvt_f32_i32_e32 v145, v145                               // 000000005D8C: 7F220B91
	v_cvt_f32_i32_e32 v146, v146                               // 000000005D90: 7F240B92
	v_cvt_f32_i32_e32 v147, v147                               // 000000005D94: 7F260B93
	v_mul_f32_e32 v144, v13, v144                              // 000000005D98: 0B21210D
	v_mul_f32_e32 v145, v13, v145                              // 000000005D9C: 0B23230D
	v_mul_f32_e32 v146, v13, v146                              // 000000005DA0: 0B25250D
	v_mul_f32_e32 v147, v13, v147                              // 000000005DA4: 0B27270D
	v_mul_f32_dpp v144, v15, v144 row_newbcast:8 row_mask:0xf bank_mask:0xf// 000000005DA8: 0B2120FA FF01580F
	v_mul_f32_dpp v145, v15, v145 row_newbcast:9 row_mask:0xf bank_mask:0xf// 000000005DB0: 0B2322FA FF01590F
	v_mul_f32_dpp v146, v15, v146 row_newbcast:10 row_mask:0xf bank_mask:0xf// 000000005DB8: 0B2524FA FF015A0F
	v_mul_f32_dpp v147, v15, v147 row_newbcast:11 row_mask:0xf bank_mask:0xf// 000000005DC0: 0B2726FA FF015B0F
	v_cvt_f32_i32_e32 v148, v148                               // 000000005DC8: 7F280B94
	v_cvt_f32_i32_e32 v149, v149                               // 000000005DCC: 7F2A0B95
	v_cvt_f32_i32_e32 v150, v150                               // 000000005DD0: 7F2C0B96
	v_cvt_f32_i32_e32 v151, v151                               // 000000005DD4: 7F2E0B97
	v_mul_f32_e32 v148, v14, v148                              // 000000005DD8: 0B29290E
	v_mul_f32_e32 v149, v14, v149                              // 000000005DDC: 0B2B2B0E
	v_mul_f32_e32 v150, v14, v150                              // 000000005DE0: 0B2D2D0E
	v_mul_f32_e32 v151, v14, v151                              // 000000005DE4: 0B2F2F0E
	v_mul_f32_dpp v148, v15, v148 row_newbcast:8 row_mask:0xf bank_mask:0xf// 000000005DE8: 0B2928FA FF01580F
	v_mul_f32_dpp v149, v15, v149 row_newbcast:9 row_mask:0xf bank_mask:0xf// 000000005DF0: 0B2B2AFA FF01590F
	v_mul_f32_dpp v150, v15, v150 row_newbcast:10 row_mask:0xf bank_mask:0xf// 000000005DF8: 0B2D2CFA FF015A0F
	v_mul_f32_dpp v151, v15, v151 row_newbcast:11 row_mask:0xf bank_mask:0xf// 000000005E00: 0B2F2EFA FF015B0F
	s_waitcnt vmcnt(8)                                         // 000000005E08: BF8C0F78
	buffer_load_dwordx4 a[0:3], v35, s[12:15], 0 offen         // 000000005E0C: E05C1000 80830023
	v_mul_f32_e32 v44, v128, v128                              // 000000005E14: 0A590180
	v_mul_f32_e32 v45, v129, v129                              // 000000005E18: 0A5B0381
	v_mul_f32_e32 v46, v130, v130                              // 000000005E1C: 0A5D0582
	v_mul_f32_e32 v47, v131, v131                              // 000000005E20: 0A5F0783
	v_fma_f32 v44, v44, s77, v1                                // 000000005E24: D1CB002C 04049B2C
	v_fma_f32 v45, v45, s77, v1                                // 000000005E2C: D1CB002D 04049B2D
	v_fma_f32 v46, v46, s77, v1                                // 000000005E34: D1CB002E 04049B2E
	v_fma_f32 v47, v47, s77, v1                                // 000000005E3C: D1CB002F 04049B2F
	v_mul_f32_e32 v44, v44, v128                               // 000000005E44: 0A59012C
	v_mul_f32_e32 v45, v45, v129                               // 000000005E48: 0A5B032D
	v_mul_f32_e32 v46, v46, v130                               // 000000005E4C: 0A5D052E
	v_mul_f32_e32 v47, v47, v131                               // 000000005E50: 0A5F072F
	v_mul_f32_e64 v44, v44, s6                                 // 000000005E54: D105002C 00000D2C
	v_mul_f32_e64 v45, v45, s6                                 // 000000005E5C: D105002D 00000D2D
	v_mul_f32_e64 v46, v46, s6                                 // 000000005E64: D105002E 00000D2E
	v_mul_f32_e64 v47, v47, s6                                 // 000000005E6C: D105002F 00000D2F
	v_exp_f32_e32 v44, v44                                     // 000000005E74: 7E58412C
	v_exp_f32_e32 v45, v45                                     // 000000005E78: 7E5A412D
	v_exp_f32_e32 v46, v46                                     // 000000005E7C: 7E5C412E
	v_exp_f32_e32 v47, v47                                     // 000000005E80: 7E5E412F
	buffer_load_dwordx4 a[4:7], v36, s[12:15], 0 offen         // 000000005E84: E05C1000 80830424
	v_add_f32_e64 v44, v44, 1.0                                // 000000005E8C: D101002C 0001E52C
	v_add_f32_e64 v45, v45, 1.0                                // 000000005E94: D101002D 0001E52D
	v_add_f32_e64 v46, v46, 1.0                                // 000000005E9C: D101002E 0001E52E
	v_add_f32_e64 v47, v47, 1.0                                // 000000005EA4: D101002F 0001E52F
	v_rcp_f32_e32 v44, v44                                     // 000000005EAC: 7E58452C
	v_rcp_f32_e32 v45, v45                                     // 000000005EB0: 7E5A452D
	v_rcp_f32_e32 v46, v46                                     // 000000005EB4: 7E5C452E
	v_rcp_f32_e32 v47, v47                                     // 000000005EB8: 7E5E452F
	v_mul_f32_e32 v128, v128, v44                              // 000000005EBC: 0B005980
	v_mul_f32_e32 v129, v129, v45                              // 000000005EC0: 0B025B81
	v_mul_f32_e32 v130, v130, v46                              // 000000005EC4: 0B045D82
	v_mul_f32_e32 v131, v131, v47                              // 000000005EC8: 0B065F83
	buffer_load_dwordx4 a[8:11], v37, s[12:15], 0 offen        // 000000005ECC: E05C1000 80830825
	v_mul_f32_e32 v44, v132, v132                              // 000000005ED4: 0A590984
	v_mul_f32_e32 v45, v133, v133                              // 000000005ED8: 0A5B0B85
	v_mul_f32_e32 v46, v134, v134                              // 000000005EDC: 0A5D0D86
	v_mul_f32_e32 v47, v135, v135                              // 000000005EE0: 0A5F0F87
	v_fma_f32 v44, v44, s77, v1                                // 000000005EE4: D1CB002C 04049B2C
	v_fma_f32 v45, v45, s77, v1                                // 000000005EEC: D1CB002D 04049B2D
	v_fma_f32 v46, v46, s77, v1                                // 000000005EF4: D1CB002E 04049B2E
	v_fma_f32 v47, v47, s77, v1                                // 000000005EFC: D1CB002F 04049B2F
	v_mul_f32_e32 v44, v44, v132                               // 000000005F04: 0A59092C
	v_mul_f32_e32 v45, v45, v133                               // 000000005F08: 0A5B0B2D
	v_mul_f32_e32 v46, v46, v134                               // 000000005F0C: 0A5D0D2E
	v_mul_f32_e32 v47, v47, v135                               // 000000005F10: 0A5F0F2F
	v_mul_f32_e64 v44, v44, s6                                 // 000000005F14: D105002C 00000D2C
	v_mul_f32_e64 v45, v45, s6                                 // 000000005F1C: D105002D 00000D2D
	v_mul_f32_e64 v46, v46, s6                                 // 000000005F24: D105002E 00000D2E
	v_mul_f32_e64 v47, v47, s6                                 // 000000005F2C: D105002F 00000D2F
	v_exp_f32_e32 v44, v44                                     // 000000005F34: 7E58412C
	v_exp_f32_e32 v45, v45                                     // 000000005F38: 7E5A412D
	v_exp_f32_e32 v46, v46                                     // 000000005F3C: 7E5C412E
	v_exp_f32_e32 v47, v47                                     // 000000005F40: 7E5E412F
	buffer_load_dwordx4 a[12:15], v38, s[12:15], 0 offen       // 000000005F44: E05C1000 80830C26
	s_add_u32 s12, s78, s12                                    // 000000005F4C: 800C0C4E
	s_addc_u32 s13, 0, s13                                     // 000000005F50: 820D0D80
	v_add_f32_e64 v44, v44, 1.0                                // 000000005F54: D101002C 0001E52C
	v_add_f32_e64 v45, v45, 1.0                                // 000000005F5C: D101002D 0001E52D
	v_add_f32_e64 v46, v46, 1.0                                // 000000005F64: D101002E 0001E52E
	v_add_f32_e64 v47, v47, 1.0                                // 000000005F6C: D101002F 0001E52F
	v_rcp_f32_e32 v44, v44                                     // 000000005F74: 7E58452C
	v_rcp_f32_e32 v45, v45                                     // 000000005F78: 7E5A452D
	v_rcp_f32_e32 v46, v46                                     // 000000005F7C: 7E5C452E
	v_rcp_f32_e32 v47, v47                                     // 000000005F80: 7E5E452F
	v_mul_f32_e32 v132, v132, v44                              // 000000005F84: 0B085984
	v_mul_f32_e32 v133, v133, v45                              // 000000005F88: 0B0A5B85
	v_mul_f32_e32 v134, v134, v46                              // 000000005F8C: 0B0C5D86
	v_mul_f32_e32 v135, v135, v47                              // 000000005F90: 0B0E5F87
	s_waitcnt vmcnt(8)                                         // 000000005F94: BF8C0F78
	buffer_load_dwordx4 a[16:19], v35, s[12:15], 0 offen       // 000000005F98: E05C1000 80831023
	v_mul_f32_e32 v44, v136, v136                              // 000000005FA0: 0A591188
	v_mul_f32_e32 v45, v137, v137                              // 000000005FA4: 0A5B1389
	v_mul_f32_e32 v46, v138, v138                              // 000000005FA8: 0A5D158A
	v_mul_f32_e32 v47, v139, v139                              // 000000005FAC: 0A5F178B
	v_fma_f32 v44, v44, s77, v1                                // 000000005FB0: D1CB002C 04049B2C
	v_fma_f32 v45, v45, s77, v1                                // 000000005FB8: D1CB002D 04049B2D
	v_fma_f32 v46, v46, s77, v1                                // 000000005FC0: D1CB002E 04049B2E
	v_fma_f32 v47, v47, s77, v1                                // 000000005FC8: D1CB002F 04049B2F
	v_mul_f32_e32 v44, v44, v136                               // 000000005FD0: 0A59112C
	v_mul_f32_e32 v45, v45, v137                               // 000000005FD4: 0A5B132D
	v_mul_f32_e32 v46, v46, v138                               // 000000005FD8: 0A5D152E
	v_mul_f32_e32 v47, v47, v139                               // 000000005FDC: 0A5F172F
	v_mul_f32_e64 v44, v44, s6                                 // 000000005FE0: D105002C 00000D2C
	v_mul_f32_e64 v45, v45, s6                                 // 000000005FE8: D105002D 00000D2D
	v_mul_f32_e64 v46, v46, s6                                 // 000000005FF0: D105002E 00000D2E
	v_mul_f32_e64 v47, v47, s6                                 // 000000005FF8: D105002F 00000D2F
	v_exp_f32_e32 v44, v44                                     // 000000006000: 7E58412C
	v_exp_f32_e32 v45, v45                                     // 000000006004: 7E5A412D
	v_exp_f32_e32 v46, v46                                     // 000000006008: 7E5C412E
	v_exp_f32_e32 v47, v47                                     // 00000000600C: 7E5E412F
	buffer_load_dwordx4 a[20:23], v36, s[12:15], 0 offen       // 000000006010: E05C1000 80831424
	v_add_f32_e64 v44, v44, 1.0                                // 000000006018: D101002C 0001E52C
	v_add_f32_e64 v45, v45, 1.0                                // 000000006020: D101002D 0001E52D
	v_add_f32_e64 v46, v46, 1.0                                // 000000006028: D101002E 0001E52E
	v_add_f32_e64 v47, v47, 1.0                                // 000000006030: D101002F 0001E52F
	v_rcp_f32_e32 v44, v44                                     // 000000006038: 7E58452C
	v_rcp_f32_e32 v45, v45                                     // 00000000603C: 7E5A452D
	v_rcp_f32_e32 v46, v46                                     // 000000006040: 7E5C452E
	v_rcp_f32_e32 v47, v47                                     // 000000006044: 7E5E452F
	v_mul_f32_e32 v136, v136, v44                              // 000000006048: 0B105988
	v_mul_f32_e32 v137, v137, v45                              // 00000000604C: 0B125B89
	v_mul_f32_e32 v138, v138, v46                              // 000000006050: 0B145D8A
	v_mul_f32_e32 v139, v139, v47                              // 000000006054: 0B165F8B
	buffer_load_dwordx4 a[24:27], v37, s[12:15], 0 offen       // 000000006058: E05C1000 80831825
	v_mul_f32_e32 v44, v140, v140                              // 000000006060: 0A59198C
	v_mul_f32_e32 v45, v141, v141                              // 000000006064: 0A5B1B8D
	v_mul_f32_e32 v46, v142, v142                              // 000000006068: 0A5D1D8E
	v_mul_f32_e32 v47, v143, v143                              // 00000000606C: 0A5F1F8F
	v_fma_f32 v44, v44, s77, v1                                // 000000006070: D1CB002C 04049B2C
	v_fma_f32 v45, v45, s77, v1                                // 000000006078: D1CB002D 04049B2D
	v_fma_f32 v46, v46, s77, v1                                // 000000006080: D1CB002E 04049B2E
	v_fma_f32 v47, v47, s77, v1                                // 000000006088: D1CB002F 04049B2F
	v_mul_f32_e32 v44, v44, v140                               // 000000006090: 0A59192C
	v_mul_f32_e32 v45, v45, v141                               // 000000006094: 0A5B1B2D
	v_mul_f32_e32 v46, v46, v142                               // 000000006098: 0A5D1D2E
	v_mul_f32_e32 v47, v47, v143                               // 00000000609C: 0A5F1F2F
	v_mul_f32_e64 v44, v44, s6                                 // 0000000060A0: D105002C 00000D2C
	v_mul_f32_e64 v45, v45, s6                                 // 0000000060A8: D105002D 00000D2D
	v_mul_f32_e64 v46, v46, s6                                 // 0000000060B0: D105002E 00000D2E
	v_mul_f32_e64 v47, v47, s6                                 // 0000000060B8: D105002F 00000D2F
	v_exp_f32_e32 v44, v44                                     // 0000000060C0: 7E58412C
	v_exp_f32_e32 v45, v45                                     // 0000000060C4: 7E5A412D
	v_exp_f32_e32 v46, v46                                     // 0000000060C8: 7E5C412E
	v_exp_f32_e32 v47, v47                                     // 0000000060CC: 7E5E412F
	buffer_load_dwordx4 a[28:31], v38, s[12:15], 0 offen       // 0000000060D0: E05C1000 80831C26
	s_add_u32 s12, s78, s12                                    // 0000000060D8: 800C0C4E
	s_addc_u32 s13, 0, s13                                     // 0000000060DC: 820D0D80
	v_add_f32_e64 v44, v44, 1.0                                // 0000000060E0: D101002C 0001E52C
	v_add_f32_e64 v45, v45, 1.0                                // 0000000060E8: D101002D 0001E52D
	v_add_f32_e64 v46, v46, 1.0                                // 0000000060F0: D101002E 0001E52E
	v_add_f32_e64 v47, v47, 1.0                                // 0000000060F8: D101002F 0001E52F
	v_rcp_f32_e32 v44, v44                                     // 000000006100: 7E58452C
	v_rcp_f32_e32 v45, v45                                     // 000000006104: 7E5A452D
	v_rcp_f32_e32 v46, v46                                     // 000000006108: 7E5C452E
	v_rcp_f32_e32 v47, v47                                     // 00000000610C: 7E5E452F
	v_mul_f32_e32 v140, v140, v44                              // 000000006110: 0B18598C
	v_mul_f32_e32 v141, v141, v45                              // 000000006114: 0B1A5B8D
	v_mul_f32_e32 v142, v142, v46                              // 000000006118: 0B1C5D8E
	v_mul_f32_e32 v143, v143, v47                              // 00000000611C: 0B1E5F8F
	s_waitcnt vmcnt(8)                                         // 000000006120: BF8C0F78
	buffer_load_dwordx4 a[32:35], v35, s[12:15], 0 offen       // 000000006124: E05C1000 80832023
	v_mul_f32_e32 v44, v144, v144                              // 00000000612C: 0A592190
	v_mul_f32_e32 v45, v145, v145                              // 000000006130: 0A5B2391
	v_mul_f32_e32 v46, v146, v146                              // 000000006134: 0A5D2592
	v_mul_f32_e32 v47, v147, v147                              // 000000006138: 0A5F2793
	v_fma_f32 v44, v44, s77, v1                                // 00000000613C: D1CB002C 04049B2C
	v_fma_f32 v45, v45, s77, v1                                // 000000006144: D1CB002D 04049B2D
	v_fma_f32 v46, v46, s77, v1                                // 00000000614C: D1CB002E 04049B2E
	v_fma_f32 v47, v47, s77, v1                                // 000000006154: D1CB002F 04049B2F
	v_mul_f32_e32 v44, v44, v144                               // 00000000615C: 0A59212C
	v_mul_f32_e32 v45, v45, v145                               // 000000006160: 0A5B232D
	v_mul_f32_e32 v46, v46, v146                               // 000000006164: 0A5D252E
	v_mul_f32_e32 v47, v47, v147                               // 000000006168: 0A5F272F
	v_mul_f32_e64 v44, v44, s6                                 // 00000000616C: D105002C 00000D2C
	v_mul_f32_e64 v45, v45, s6                                 // 000000006174: D105002D 00000D2D
	v_mul_f32_e64 v46, v46, s6                                 // 00000000617C: D105002E 00000D2E
	v_mul_f32_e64 v47, v47, s6                                 // 000000006184: D105002F 00000D2F
	v_exp_f32_e32 v44, v44                                     // 00000000618C: 7E58412C
	v_exp_f32_e32 v45, v45                                     // 000000006190: 7E5A412D
	v_exp_f32_e32 v46, v46                                     // 000000006194: 7E5C412E
	v_exp_f32_e32 v47, v47                                     // 000000006198: 7E5E412F
	buffer_load_dwordx4 a[36:39], v36, s[12:15], 0 offen       // 00000000619C: E05C1000 80832424
	v_add_f32_e64 v44, v44, 1.0                                // 0000000061A4: D101002C 0001E52C
	v_add_f32_e64 v45, v45, 1.0                                // 0000000061AC: D101002D 0001E52D
	v_add_f32_e64 v46, v46, 1.0                                // 0000000061B4: D101002E 0001E52E
	v_add_f32_e64 v47, v47, 1.0                                // 0000000061BC: D101002F 0001E52F
	v_rcp_f32_e32 v44, v44                                     // 0000000061C4: 7E58452C
	v_rcp_f32_e32 v45, v45                                     // 0000000061C8: 7E5A452D
	v_rcp_f32_e32 v46, v46                                     // 0000000061CC: 7E5C452E
	v_rcp_f32_e32 v47, v47                                     // 0000000061D0: 7E5E452F
	v_mul_f32_e32 v144, v144, v44                              // 0000000061D4: 0B205990
	v_mul_f32_e32 v145, v145, v45                              // 0000000061D8: 0B225B91
	v_mul_f32_e32 v146, v146, v46                              // 0000000061DC: 0B245D92
	v_mul_f32_e32 v147, v147, v47                              // 0000000061E0: 0B265F93
	buffer_load_dwordx4 a[40:43], v37, s[12:15], 0 offen       // 0000000061E4: E05C1000 80832825
	v_mul_f32_e32 v44, v148, v148                              // 0000000061EC: 0A592994
	v_mul_f32_e32 v45, v149, v149                              // 0000000061F0: 0A5B2B95
	v_mul_f32_e32 v46, v150, v150                              // 0000000061F4: 0A5D2D96
	v_mul_f32_e32 v47, v151, v151                              // 0000000061F8: 0A5F2F97
	v_fma_f32 v44, v44, s77, v1                                // 0000000061FC: D1CB002C 04049B2C
	v_fma_f32 v45, v45, s77, v1                                // 000000006204: D1CB002D 04049B2D
	v_fma_f32 v46, v46, s77, v1                                // 00000000620C: D1CB002E 04049B2E
	v_fma_f32 v47, v47, s77, v1                                // 000000006214: D1CB002F 04049B2F
	v_mul_f32_e32 v44, v44, v148                               // 00000000621C: 0A59292C
	v_mul_f32_e32 v45, v45, v149                               // 000000006220: 0A5B2B2D
	v_mul_f32_e32 v46, v46, v150                               // 000000006224: 0A5D2D2E
	v_mul_f32_e32 v47, v47, v151                               // 000000006228: 0A5F2F2F
	v_mul_f32_e64 v44, v44, s6                                 // 00000000622C: D105002C 00000D2C
	v_mul_f32_e64 v45, v45, s6                                 // 000000006234: D105002D 00000D2D
	v_mul_f32_e64 v46, v46, s6                                 // 00000000623C: D105002E 00000D2E
	v_mul_f32_e64 v47, v47, s6                                 // 000000006244: D105002F 00000D2F
	v_exp_f32_e32 v44, v44                                     // 00000000624C: 7E58412C
	v_exp_f32_e32 v45, v45                                     // 000000006250: 7E5A412D
	v_exp_f32_e32 v46, v46                                     // 000000006254: 7E5C412E
	v_exp_f32_e32 v47, v47                                     // 000000006258: 7E5E412F
	buffer_load_dwordx4 a[44:47], v38, s[12:15], 0 offen       // 00000000625C: E05C1000 80832C26
	v_add_f32_e64 v44, v44, 1.0                                // 000000006264: D101002C 0001E52C
	v_add_f32_e64 v45, v45, 1.0                                // 00000000626C: D101002D 0001E52D
	v_add_f32_e64 v46, v46, 1.0                                // 000000006274: D101002E 0001E52E
	v_add_f32_e64 v47, v47, 1.0                                // 00000000627C: D101002F 0001E52F
	v_rcp_f32_e32 v44, v44                                     // 000000006284: 7E58452C
	v_rcp_f32_e32 v45, v45                                     // 000000006288: 7E5A452D
	v_rcp_f32_e32 v46, v46                                     // 00000000628C: 7E5C452E
	v_rcp_f32_e32 v47, v47                                     // 000000006290: 7E5E452F
	v_mul_f32_e32 v148, v148, v44                              // 000000006294: 0B285994
	v_mul_f32_e32 v149, v149, v45                              // 000000006298: 0B2A5B95
	v_mul_f32_e32 v150, v150, v46                              // 00000000629C: 0B2C5D96
	v_mul_f32_e32 v151, v151, v47                              // 0000000062A0: 0B2E5F97
	v_mul_f32_dpp v128, v16, v128 row_newbcast:0 row_mask:0xf bank_mask:0xf// 0000000062A4: 0B0100FA FF015010
	v_mul_f32_dpp v129, v16, v129 row_newbcast:1 row_mask:0xf bank_mask:0xf// 0000000062AC: 0B0302FA FF015110
	v_mul_f32_dpp v130, v16, v130 row_newbcast:2 row_mask:0xf bank_mask:0xf// 0000000062B4: 0B0504FA FF015210
	v_mul_f32_dpp v131, v16, v131 row_newbcast:3 row_mask:0xf bank_mask:0xf// 0000000062BC: 0B0706FA FF015310
	v_mul_f32_dpp v132, v16, v132 row_newbcast:0 row_mask:0xf bank_mask:0xf// 0000000062C4: 0B0908FA FF015010
	v_mul_f32_dpp v133, v16, v133 row_newbcast:1 row_mask:0xf bank_mask:0xf// 0000000062CC: 0B0B0AFA FF015110
	v_mul_f32_dpp v134, v16, v134 row_newbcast:2 row_mask:0xf bank_mask:0xf// 0000000062D4: 0B0D0CFA FF015210
	v_mul_f32_dpp v135, v16, v135 row_newbcast:3 row_mask:0xf bank_mask:0xf// 0000000062DC: 0B0F0EFA FF015310
	v_mul_f32_dpp v136, v16, v136 row_newbcast:4 row_mask:0xf bank_mask:0xf// 0000000062E4: 0B1110FA FF015410
	v_mul_f32_dpp v137, v16, v137 row_newbcast:5 row_mask:0xf bank_mask:0xf// 0000000062EC: 0B1312FA FF015510
	v_mul_f32_dpp v138, v16, v138 row_newbcast:6 row_mask:0xf bank_mask:0xf// 0000000062F4: 0B1514FA FF015610
	v_mul_f32_dpp v139, v16, v139 row_newbcast:7 row_mask:0xf bank_mask:0xf// 0000000062FC: 0B1716FA FF015710
	v_mul_f32_dpp v140, v16, v140 row_newbcast:4 row_mask:0xf bank_mask:0xf// 000000006304: 0B1918FA FF015410
	v_mul_f32_dpp v141, v16, v141 row_newbcast:5 row_mask:0xf bank_mask:0xf// 00000000630C: 0B1B1AFA FF015510
	v_mul_f32_dpp v142, v16, v142 row_newbcast:6 row_mask:0xf bank_mask:0xf// 000000006314: 0B1D1CFA FF015610
	v_mul_f32_dpp v143, v16, v143 row_newbcast:7 row_mask:0xf bank_mask:0xf// 00000000631C: 0B1F1EFA FF015710
	v_mul_f32_dpp v144, v16, v144 row_newbcast:8 row_mask:0xf bank_mask:0xf// 000000006324: 0B2120FA FF015810
	v_mul_f32_dpp v145, v16, v145 row_newbcast:9 row_mask:0xf bank_mask:0xf// 00000000632C: 0B2322FA FF015910
	v_mul_f32_dpp v146, v16, v146 row_newbcast:10 row_mask:0xf bank_mask:0xf// 000000006334: 0B2524FA FF015A10
	v_mul_f32_dpp v147, v16, v147 row_newbcast:11 row_mask:0xf bank_mask:0xf// 00000000633C: 0B2726FA FF015B10
	v_mul_f32_dpp v148, v16, v148 row_newbcast:8 row_mask:0xf bank_mask:0xf// 000000006344: 0B2928FA FF015810
	v_mul_f32_dpp v149, v16, v149 row_newbcast:9 row_mask:0xf bank_mask:0xf// 00000000634C: 0B2B2AFA FF015910
	v_mul_f32_dpp v150, v16, v150 row_newbcast:10 row_mask:0xf bank_mask:0xf// 000000006354: 0B2D2CFA FF015A10
	v_mul_f32_dpp v151, v16, v151 row_newbcast:11 row_mask:0xf bank_mask:0xf// 00000000635C: 0B2F2EFA FF015B10
	buffer_load_dword v11, v5, s[16:19], 0 offen               // 000000006364: E0501000 80040B05
	v_mov_b32_e32 v20, 0x358637bd                              // 00000000636C: 7E2802FF 358637BD
	v_mov_b32_e32 v21, 0x358637bd                              // 000000006374: 7E2A02FF 358637BD
	v_max3_f32 v20, |v128|, |v129|, v20                        // 00000000637C: D1D30314 04530380
	v_max3_f32 v20, |v130|, |v131|, v20                        // 000000006384: D1D30314 04530782
	v_max3_f32 v21, |v132|, |v133|, v21                        // 00000000638C: D1D30315 04570B84
	v_max3_f32 v21, |v134|, |v135|, v21                        // 000000006394: D1D30315 04570F86
	v_max3_f32 v20, |v136|, |v137|, v20                        // 00000000639C: D1D30314 04531388
	v_max3_f32 v20, |v138|, |v139|, v20                        // 0000000063A4: D1D30314 0453178A
	v_max3_f32 v21, |v140|, |v141|, v21                        // 0000000063AC: D1D30315 04571B8C
	v_max3_f32 v21, |v142|, |v143|, v21                        // 0000000063B4: D1D30315 04571F8E
	v_max3_f32 v20, |v144|, |v145|, v20                        // 0000000063BC: D1D30314 04532390
	v_max3_f32 v20, |v146|, |v147|, v20                        // 0000000063C4: D1D30314 04532792
	v_max3_f32 v21, |v148|, |v149|, v21                        // 0000000063CC: D1D30315 04572B94
	v_max3_f32 v21, |v150|, |v151|, v21                        // 0000000063D4: D1D30315 04572F96
	v_lshlrev_b32_e32 v44, 3, v0                               // 0000000063DC: 24580083
	s_mul_i32 s60, 0x200, s7                                   // 0000000063E0: 923C07FF 00000200
	v_add_u32_e32 v44, s60, v44                                // 0000000063E8: 6858583C
	ds_write_b64 v44, v[20:21] offset:16640                    // 0000000063EC: D89A4100 0000142C
	s_waitcnt lgkmcnt(0)                                       // 0000000063F4: BF8CC07F
	s_barrier                                                  // 0000000063F8: BF8A0000
	v_and_b32_e32 v44, 15, v0                                  // 0000000063FC: 2658008F
	v_lshlrev_b32_e32 v44, 3, v44                              // 000000006400: 24585883
	ds_read_b64 v[96:97], v44 offset:16640                     // 000000006404: D8EC4100 6000002C
	ds_read_b64 v[98:99], v44 offset:16768                     // 00000000640C: D8EC4180 6200002C
	ds_read_b64 v[100:101], v44 offset:16896                   // 000000006414: D8EC4200 6400002C
	ds_read_b64 v[102:103], v44 offset:17024                   // 00000000641C: D8EC4280 6600002C
	ds_read_b64 v[104:105], v44 offset:17152                   // 000000006424: D8EC4300 6800002C
	ds_read_b64 v[106:107], v44 offset:17280                   // 00000000642C: D8EC4380 6A00002C
	ds_read_b64 v[108:109], v44 offset:17408                   // 000000006434: D8EC4400 6C00002C
	ds_read_b64 v[110:111], v44 offset:17536                   // 00000000643C: D8EC4480 6E00002C
	ds_read_b64 v[112:113], v44 offset:17664                   // 000000006444: D8EC4500 7000002C
	ds_read_b64 v[114:115], v44 offset:17792                   // 00000000644C: D8EC4580 7200002C
	ds_read_b64 v[116:117], v44 offset:17920                   // 000000006454: D8EC4600 7400002C
	ds_read_b64 v[118:119], v44 offset:18048                   // 00000000645C: D8EC4680 7600002C
	ds_read_b64 v[120:121], v44 offset:18176                   // 000000006464: D8EC4700 7800002C
	ds_read_b64 v[122:123], v44 offset:18304                   // 00000000646C: D8EC4780 7A00002C
	ds_read_b64 v[124:125], v44 offset:18432                   // 000000006474: D8EC4800 7C00002C
	ds_read_b64 v[126:127], v44 offset:18560                   // 00000000647C: D8EC4880 7E00002C
	s_waitcnt lgkmcnt(0)                                       // 000000006484: BF8CC07F
	v_max3_f32 v20, |v96|, |v98|, v20                          // 000000006488: D1D30314 0452C560
	v_max3_f32 v21, |v97|, |v99|, v21                          // 000000006490: D1D30315 0456C761
	v_max3_f32 v20, |v100|, |v102|, v20                        // 000000006498: D1D30314 0452CD64
	v_max3_f32 v21, |v101|, |v103|, v21                        // 0000000064A0: D1D30315 0456CF65
	v_max3_f32 v20, |v104|, |v106|, v20                        // 0000000064A8: D1D30314 0452D568
	v_max3_f32 v21, |v105|, |v107|, v21                        // 0000000064B0: D1D30315 0456D769
	v_max3_f32 v20, |v108|, |v110|, v20                        // 0000000064B8: D1D30314 0452DD6C
	v_max3_f32 v21, |v109|, |v111|, v21                        // 0000000064C0: D1D30315 0456DF6D
	v_max3_f32 v20, |v112|, |v114|, v20                        // 0000000064C8: D1D30314 0452E570
	v_max3_f32 v21, |v113|, |v115|, v21                        // 0000000064D0: D1D30315 0456E771
	v_max3_f32 v20, |v116|, |v118|, v20                        // 0000000064D8: D1D30314 0452ED74
	v_max3_f32 v21, |v117|, |v119|, v21                        // 0000000064E0: D1D30315 0456EF75
	v_max3_f32 v20, |v120|, |v122|, v20                        // 0000000064E8: D1D30314 0452F578
	v_max3_f32 v21, |v121|, |v123|, v21                        // 0000000064F0: D1D30315 0456F779
	v_max3_f32 v20, |v124|, |v126|, v20                        // 0000000064F8: D1D30314 0452FD7C
	v_max3_f32 v21, |v125|, |v127|, v21                        // 000000006500: D1D30315 0456FF7D
	v_rcp_f32_e32 v20, v20                                     // 000000006508: 7E284514
	v_rcp_f32_e32 v21, v21                                     // 00000000650C: 7E2A4515
	v_mul_f32_e32 v20, 0x42fe0000, v20                         // 000000006510: 0A2828FF 42FE0000
	v_mul_f32_e32 v21, 0x42fe0000, v21                         // 000000006518: 0A2A2AFF 42FE0000
	v_mul_f32_e32 v128, v20, v128                              // 000000006520: 0B010114
	v_mul_f32_e32 v129, v20, v129                              // 000000006524: 0B030314
	v_mul_f32_e32 v130, v20, v130                              // 000000006528: 0B050514
	v_mul_f32_e32 v131, v20, v131                              // 00000000652C: 0B070714
	v_cvt_i32_f32_e32 v128, v128                               // 000000006530: 7F001180
	v_cvt_i32_f32_e32 v129, v129                               // 000000006534: 7F021181
	v_cvt_i32_f32_e32 v130, v130                               // 000000006538: 7F041182
	v_cvt_i32_f32_e32 v131, v131                               // 00000000653C: 7F061183
	v_perm_b32 v128, v129, v128, s53                           // 000000006540: D1ED0080 00D70181
	v_perm_b32 v128, v130, v128, s54                           // 000000006548: D1ED0080 00DB0182
	v_perm_b32 v128, v131, v128, s55                           // 000000006550: D1ED0080 00DF0183
	v_mul_f32_e32 v132, v21, v132                              // 000000006558: 0B090915
	v_mul_f32_e32 v133, v21, v133                              // 00000000655C: 0B0B0B15
	v_mul_f32_e32 v134, v21, v134                              // 000000006560: 0B0D0D15
	v_mul_f32_e32 v135, v21, v135                              // 000000006564: 0B0F0F15
	v_cvt_i32_f32_e32 v132, v132                               // 000000006568: 7F081184
	v_cvt_i32_f32_e32 v133, v133                               // 00000000656C: 7F0A1185
	v_cvt_i32_f32_e32 v134, v134                               // 000000006570: 7F0C1186
	v_cvt_i32_f32_e32 v135, v135                               // 000000006574: 7F0E1187
	v_perm_b32 v129, v133, v132, s53                           // 000000006578: D1ED0081 00D70985
	v_perm_b32 v129, v134, v129, s54                           // 000000006580: D1ED0081 00DB0386
	v_perm_b32 v129, v135, v129, s55                           // 000000006588: D1ED0081 00DF0387
	v_mul_f32_e32 v136, v20, v136                              // 000000006590: 0B111114
	v_mul_f32_e32 v137, v20, v137                              // 000000006594: 0B131314
	v_mul_f32_e32 v138, v20, v138                              // 000000006598: 0B151514
	v_mul_f32_e32 v139, v20, v139                              // 00000000659C: 0B171714
	v_cvt_i32_f32_e32 v136, v136                               // 0000000065A0: 7F101188
	v_cvt_i32_f32_e32 v137, v137                               // 0000000065A4: 7F121189
	v_cvt_i32_f32_e32 v138, v138                               // 0000000065A8: 7F14118A
	v_cvt_i32_f32_e32 v139, v139                               // 0000000065AC: 7F16118B
	v_perm_b32 v130, v137, v136, s53                           // 0000000065B0: D1ED0082 00D71189
	v_perm_b32 v130, v138, v130, s54                           // 0000000065B8: D1ED0082 00DB058A
	v_perm_b32 v130, v139, v130, s55                           // 0000000065C0: D1ED0082 00DF058B
	v_mul_f32_e32 v140, v21, v140                              // 0000000065C8: 0B191915
	v_mul_f32_e32 v141, v21, v141                              // 0000000065CC: 0B1B1B15
	v_mul_f32_e32 v142, v21, v142                              // 0000000065D0: 0B1D1D15
	v_mul_f32_e32 v143, v21, v143                              // 0000000065D4: 0B1F1F15
	v_cvt_i32_f32_e32 v140, v140                               // 0000000065D8: 7F18118C
	v_cvt_i32_f32_e32 v141, v141                               // 0000000065DC: 7F1A118D
	v_cvt_i32_f32_e32 v142, v142                               // 0000000065E0: 7F1C118E
	v_cvt_i32_f32_e32 v143, v143                               // 0000000065E4: 7F1E118F
	v_perm_b32 v131, v141, v140, s53                           // 0000000065E8: D1ED0083 00D7198D
	v_perm_b32 v131, v142, v131, s54                           // 0000000065F0: D1ED0083 00DB078E
	v_perm_b32 v131, v143, v131, s55                           // 0000000065F8: D1ED0083 00DF078F
	v_mul_f32_e32 v144, v20, v144                              // 000000006600: 0B212114
	v_mul_f32_e32 v145, v20, v145                              // 000000006604: 0B232314
	v_mul_f32_e32 v146, v20, v146                              // 000000006608: 0B252514
	v_mul_f32_e32 v147, v20, v147                              // 00000000660C: 0B272714
	v_cvt_i32_f32_e32 v144, v144                               // 000000006610: 7F201190
	v_cvt_i32_f32_e32 v145, v145                               // 000000006614: 7F221191
	v_cvt_i32_f32_e32 v146, v146                               // 000000006618: 7F241192
	v_cvt_i32_f32_e32 v147, v147                               // 00000000661C: 7F261193
	v_perm_b32 v132, v145, v144, s53                           // 000000006620: D1ED0084 00D72191
	v_perm_b32 v132, v146, v132, s54                           // 000000006628: D1ED0084 00DB0992
	v_perm_b32 v132, v147, v132, s55                           // 000000006630: D1ED0084 00DF0993
	v_mul_f32_e32 v148, v21, v148                              // 000000006638: 0B292915
	v_mul_f32_e32 v149, v21, v149                              // 00000000663C: 0B2B2B15
	v_mul_f32_e32 v150, v21, v150                              // 000000006640: 0B2D2D15
	v_mul_f32_e32 v151, v21, v151                              // 000000006644: 0B2F2F15
	v_cvt_i32_f32_e32 v148, v148                               // 000000006648: 7F281194
	v_cvt_i32_f32_e32 v149, v149                               // 00000000664C: 7F2A1195
	v_cvt_i32_f32_e32 v150, v150                               // 000000006650: 7F2C1196
	v_cvt_i32_f32_e32 v151, v151                               // 000000006654: 7F2E1197
	v_perm_b32 v133, v149, v148, s53                           // 000000006658: D1ED0085 00D72995
	v_perm_b32 v133, v150, v133, s54                           // 000000006660: D1ED0085 00DB0B96
	v_perm_b32 v133, v151, v133, s55                           // 000000006668: D1ED0085 00DF0B97
	v_rcp_f32_e32 v22, v20                                     // 000000006670: 7E2C4514
	v_rcp_f32_e32 v23, v21                                     // 000000006674: 7E2E4515
	v_lshrrev_b32_e32 v44, 5, v0                               // 000000006678: 20580085
	v_lshlrev_b32_e32 v45, 5, v44                              // 00000000667C: 245A5885
	v_and_b32_e32 v44, 31, v0                                  // 000000006680: 2658009F
	v_lshrrev_b32_e32 v46, 4, v44                              // 000000006684: 205C5884
	v_add_u32_e32 v45, v46, v45                                // 000000006688: 685A5B2E
	v_and_b32_e32 v44, 15, v0                                  // 00000000668C: 2658008F
	v_lshlrev_b32_e32 v44, 1, v44                              // 000000006690: 24585881
	v_add_u32_e32 v45, v44, v45                                // 000000006694: 685A5B2C
	v_lshlrev_b32_e32 v44, 2, v45                              // 000000006698: 24585A82
	s_mul_i32 s60, 0x100, s7                                   // 00000000669C: 923C07FF 00000100
	v_add_u32_e64 v44, v44, s60                                // 0000000066A4: D134002C 0000792C
	ds_write_b32 v44, v128 offset:18688                        // 0000000066AC: D81A4900 0000802C
	ds_write_b32 v44, v129 offset:21760                        // 0000000066B4: D81A5500 0000812C
	ds_write_b32 v44, v130 offset:19712                        // 0000000066BC: D81A4D00 0000822C
	ds_write_b32 v44, v131 offset:22784                        // 0000000066C4: D81A5900 0000832C
	ds_write_b32 v44, v132 offset:20736                        // 0000000066CC: D81A5100 0000842C
	ds_write_b32 v44, v133 offset:23808                        // 0000000066D4: D81A5D00 0000852C
	s_waitcnt lgkmcnt(0)                                       // 0000000066DC: BF8CC07F
	s_barrier                                                  // 0000000066E0: BF8A0000
	v_lshrrev_b32_e32 v44, 4, v0                               // 0000000066E4: 20580084
	v_lshlrev_b32_e32 v45, 6, v44                              // 0000000066E8: 245A5886
	v_and_b32_e32 v44, 15, v0                                  // 0000000066EC: 2658008F
	v_lshlrev_b32_e32 v44, 1, v44                              // 0000000066F0: 24585881
	v_add_u32_e32 v45, v44, v45                                // 0000000066F4: 685A5B2C
	v_lshlrev_b32_e32 v44, 2, v45                              // 0000000066F8: 24585A82
	ds_read_b64 v[128:129], v44 offset:18688                   // 0000000066FC: D8EC4900 8000002C
	ds_read_b64 v[130:131], v44 offset:18816                   // 000000006704: D8EC4980 8200002C
	ds_read_b64 v[132:133], v44 offset:19712                   // 00000000670C: D8EC4D00 8400002C
	ds_read_b64 v[134:135], v44 offset:19840                   // 000000006714: D8EC4D80 8600002C
	ds_read_b64 v[136:137], v44 offset:20736                   // 00000000671C: D8EC5100 8800002C
	ds_read_b64 v[138:139], v44 offset:20864                   // 000000006724: D8EC5180 8A00002C
	ds_read_b64 v[140:141], v44 offset:21760                   // 00000000672C: D8EC5500 8C00002C
	ds_read_b64 v[142:143], v44 offset:21888                   // 000000006734: D8EC5580 8E00002C
	ds_read_b64 v[144:145], v44 offset:22784                   // 00000000673C: D8EC5900 9000002C
	ds_read_b64 v[146:147], v44 offset:22912                   // 000000006744: D8EC5980 9200002C
	ds_read_b64 v[148:149], v44 offset:23808                   // 00000000674C: D8EC5D00 9400002C
	ds_read_b64 v[150:151], v44 offset:23936                   // 000000006754: D8EC5D80 9600002C
	s_add_u32 s12, s56, s12                                    // 00000000675C: 800C0C38
	s_addc_u32 s13, 0, s13                                     // 000000006760: 820D0D80
	s_add_u32 s16, s79, s16                                    // 000000006764: 8010104F
	s_addc_u32 s17, 0, s17                                     // 000000006768: 82111180
	s_mov_b32 s80, 0                                           // 00000000676C: BED00080
	s_waitcnt vmcnt(0) expcnt(0) lgkmcnt(0)                    // 000000006770: BF8C0000

0000000000006774 <label_0E5D>:
	s_waitcnt vmcnt(25)                                        // 000000006774: BF8C4F79
	s_barrier                                                  // 000000006778: BF8A0000
	v_mfma_i32_16x16x32_i8 v[152:155], a[0:1], v[128:129], 0   // 00000000677C: D3D70098 0A030100
	buffer_load_dwordx4 a[48:51], v35, s[12:15], 0 offen       // 000000006784: E05C1000 80833023
	v_mfma_i32_16x16x32_i8 v[152:155], a[2:3], v[130:131], v[152:155]// 00000000678C: D3D70098 0E630502
	v_mfma_i32_16x16x32_i8 v[156:159], a[0:1], v[140:141], 0   // 000000006794: D3D7009C 0A031900
	v_mfma_i32_16x16x32_i8 v[156:159], a[2:3], v[142:143], v[156:159]// 00000000679C: D3D7009C 0E731D02
	v_mfma_i32_16x16x32_i8 v[160:163], a[4:5], v[128:129], 0   // 0000000067A4: D3D700A0 0A030104
	buffer_load_dwordx4 a[52:55], v36, s[12:15], 0 offen       // 0000000067AC: E05C1000 80833424
	v_mfma_i32_16x16x32_i8 v[160:163], a[6:7], v[130:131], v[160:163]// 0000000067B4: D3D700A0 0E830506
	v_mfma_i32_16x16x32_i8 v[164:167], a[4:5], v[140:141], 0   // 0000000067BC: D3D700A4 0A031904
	v_mfma_i32_16x16x32_i8 v[164:167], a[6:7], v[142:143], v[164:167]// 0000000067C4: D3D700A4 0E931D06
	v_mfma_i32_16x16x32_i8 v[168:171], a[8:9], v[128:129], 0   // 0000000067CC: D3D700A8 0A030108
	buffer_load_dwordx4 a[56:59], v37, s[12:15], 0 offen       // 0000000067D4: E05C1000 80833825
	v_mfma_i32_16x16x32_i8 v[168:171], a[10:11], v[130:131], v[168:171]// 0000000067DC: D3D700A8 0EA3050A
	v_mfma_i32_16x16x32_i8 v[172:175], a[8:9], v[140:141], 0   // 0000000067E4: D3D700AC 0A031908
	v_mfma_i32_16x16x32_i8 v[172:175], a[10:11], v[142:143], v[172:175]// 0000000067EC: D3D700AC 0EB31D0A
	v_mfma_i32_16x16x32_i8 v[176:179], a[12:13], v[128:129], 0 // 0000000067F4: D3D700B0 0A03010C
	buffer_load_dwordx4 a[60:63], v38, s[12:15], 0 offen       // 0000000067FC: E05C1000 80833C26
	s_add_u32 s12, s78, s12                                    // 000000006804: 800C0C4E
	s_addc_u32 s13, 0, s13                                     // 000000006808: 820D0D80
	v_mfma_i32_16x16x32_i8 v[176:179], a[14:15], v[130:131], v[176:179]// 00000000680C: D3D700B0 0EC3050E
	v_mfma_i32_16x16x32_i8 v[180:183], a[12:13], v[140:141], 0 // 000000006814: D3D700B4 0A03190C
	v_mfma_i32_16x16x32_i8 v[180:183], a[14:15], v[142:143], v[180:183]// 00000000681C: D3D700B4 0ED31D0E
	s_waitcnt vmcnt(25)                                        // 000000006824: BF8C4F79
	v_mfma_i32_16x16x32_i8 v[152:155], a[16:17], v[132:133], v[152:155]// 000000006828: D3D70098 0E630910
	buffer_load_dwordx4 a[64:67], v35, s[12:15], 0 offen       // 000000006830: E05C1000 80834023
	v_mfma_i32_16x16x32_i8 v[152:155], a[18:19], v[134:135], v[152:155]// 000000006838: D3D70098 0E630D12
	v_mfma_i32_16x16x32_i8 v[156:159], a[16:17], v[144:145], v[156:159]// 000000006840: D3D7009C 0E732110
	v_mfma_i32_16x16x32_i8 v[156:159], a[18:19], v[146:147], v[156:159]// 000000006848: D3D7009C 0E732512
	v_mfma_i32_16x16x32_i8 v[160:163], a[20:21], v[132:133], v[160:163]// 000000006850: D3D700A0 0E830914
	buffer_load_dwordx4 a[68:71], v36, s[12:15], 0 offen       // 000000006858: E05C1000 80834424
	v_mfma_i32_16x16x32_i8 v[160:163], a[22:23], v[134:135], v[160:163]// 000000006860: D3D700A0 0E830D16
	v_mfma_i32_16x16x32_i8 v[164:167], a[20:21], v[144:145], v[164:167]// 000000006868: D3D700A4 0E932114
	v_mfma_i32_16x16x32_i8 v[164:167], a[22:23], v[146:147], v[164:167]// 000000006870: D3D700A4 0E932516
	v_mfma_i32_16x16x32_i8 v[168:171], a[24:25], v[132:133], v[168:171]// 000000006878: D3D700A8 0EA30918
	buffer_load_dwordx4 a[72:75], v37, s[12:15], 0 offen       // 000000006880: E05C1000 80834825
	v_mfma_i32_16x16x32_i8 v[168:171], a[26:27], v[134:135], v[168:171]// 000000006888: D3D700A8 0EA30D1A
	v_mfma_i32_16x16x32_i8 v[172:175], a[24:25], v[144:145], v[172:175]// 000000006890: D3D700AC 0EB32118
	v_mfma_i32_16x16x32_i8 v[172:175], a[26:27], v[146:147], v[172:175]// 000000006898: D3D700AC 0EB3251A
	v_mfma_i32_16x16x32_i8 v[176:179], a[28:29], v[132:133], v[176:179]// 0000000068A0: D3D700B0 0EC3091C
	buffer_load_dwordx4 a[76:79], v38, s[12:15], 0 offen       // 0000000068A8: E05C1000 80834C26
	s_add_u32 s12, s78, s12                                    // 0000000068B0: 800C0C4E
	s_addc_u32 s13, 0, s13                                     // 0000000068B4: 820D0D80
	v_mfma_i32_16x16x32_i8 v[176:179], a[30:31], v[134:135], v[176:179]// 0000000068B8: D3D700B0 0EC30D1E
	v_mfma_i32_16x16x32_i8 v[180:183], a[28:29], v[144:145], v[180:183]// 0000000068C0: D3D700B4 0ED3211C
	v_mfma_i32_16x16x32_i8 v[180:183], a[30:31], v[146:147], v[180:183]// 0000000068C8: D3D700B4 0ED3251E
	s_waitcnt vmcnt(24)                                        // 0000000068D0: BF8C4F78
	v_mfma_i32_16x16x32_i8 v[152:155], a[32:33], v[136:137], v[152:155]// 0000000068D4: D3D70098 0E631120
	buffer_load_dwordx4 a[80:83], v35, s[12:15], 0 offen       // 0000000068DC: E05C1000 80835023
	v_mfma_i32_16x16x32_i8 v[152:155], a[34:35], v[138:139], v[152:155]// 0000000068E4: D3D70098 0E631522
	v_mfma_i32_16x16x32_i8 v[156:159], a[32:33], v[148:149], v[156:159]// 0000000068EC: D3D7009C 0E732920
	buffer_load_dword v12, v5, s[16:19], 0 offen               // 0000000068F4: E0501000 80040C05
	v_mfma_i32_16x16x32_i8 v[156:159], a[34:35], v[150:151], v[156:159]// 0000000068FC: D3D7009C 0E732D22
	v_mfma_i32_16x16x32_i8 v[160:163], a[36:37], v[136:137], v[160:163]// 000000006904: D3D700A0 0E831124
	buffer_load_dwordx4 a[84:87], v36, s[12:15], 0 offen       // 00000000690C: E05C1000 80835424
	v_mfma_i32_16x16x32_i8 v[160:163], a[38:39], v[138:139], v[160:163]// 000000006914: D3D700A0 0E831526
	v_mfma_i32_16x16x32_i8 v[164:167], a[36:37], v[148:149], v[164:167]// 00000000691C: D3D700A4 0E932924
	v_mfma_i32_16x16x32_i8 v[164:167], a[38:39], v[150:151], v[164:167]// 000000006924: D3D700A4 0E932D26
	v_mfma_i32_16x16x32_i8 v[168:171], a[40:41], v[136:137], v[168:171]// 00000000692C: D3D700A8 0EA31128
	buffer_load_dwordx4 a[88:91], v37, s[12:15], 0 offen       // 000000006934: E05C1000 80835825
	v_mfma_i32_16x16x32_i8 v[168:171], a[42:43], v[138:139], v[168:171]// 00000000693C: D3D700A8 0EA3152A
	v_mfma_i32_16x16x32_i8 v[172:175], a[40:41], v[148:149], v[172:175]// 000000006944: D3D700AC 0EB32928
	v_mfma_i32_16x16x32_i8 v[172:175], a[42:43], v[150:151], v[172:175]// 00000000694C: D3D700AC 0EB32D2A
	v_mfma_i32_16x16x32_i8 v[176:179], a[44:45], v[136:137], v[176:179]// 000000006954: D3D700B0 0EC3112C
	buffer_load_dwordx4 a[92:95], v38, s[12:15], 0 offen       // 00000000695C: E05C1000 80835C26
	v_mfma_i32_16x16x32_i8 v[176:179], a[46:47], v[138:139], v[176:179]// 000000006964: D3D700B0 0EC3152E
	v_mfma_i32_16x16x32_i8 v[180:183], a[44:45], v[148:149], v[180:183]// 00000000696C: D3D700B4 0ED3292C
	v_mfma_i32_16x16x32_i8 v[180:183], a[46:47], v[150:151], v[180:183]// 000000006974: D3D700B4 0ED32D2E
	s_add_u32 s60, 0x200, s80                                  // 00000000697C: 803C50FF 00000200
	s_cmp_lt_u32 s60, s81                                      // 000000006984: BF0A513C
	s_cselect_b32 s56, s56, 0                                  // 000000006988: 85388038
	s_cselect_b32 s78, s78, 0                                  // 00000000698C: 854E804E
	s_cselect_b32 s79, s79, 0                                  // 000000006990: 854F804F
	s_add_u32 s12, s56, s12                                    // 000000006994: 800C0C38
	s_addc_u32 s13, 0, s13                                     // 000000006998: 820D0D80
	s_add_u32 s16, s79, s16                                    // 00000000699C: 8010104F
	s_addc_u32 s17, 0, s17                                     // 0000000069A0: 82111180
	v_cvt_f32_i32_e32 v152, v152                               // 0000000069A4: 7F300B98
	v_cvt_f32_i32_e32 v153, v153                               // 0000000069A8: 7F320B99
	v_cvt_f32_i32_e32 v154, v154                               // 0000000069AC: 7F340B9A
	v_cvt_f32_i32_e32 v155, v155                               // 0000000069B0: 7F360B9B
	v_mul_f32_e32 v152, v22, v152                              // 0000000069B4: 0B313116
	v_mul_f32_e32 v153, v22, v153                              // 0000000069B8: 0B333316
	v_mul_f32_e32 v154, v22, v154                              // 0000000069BC: 0B353516
	v_mul_f32_e32 v155, v22, v155                              // 0000000069C0: 0B373716
	v_mul_f32_dpp v152, v11, v152 row_newbcast:0 row_mask:0xf bank_mask:0xf// 0000000069C4: 0B3130FA FF01500B
	v_mul_f32_dpp v153, v11, v153 row_newbcast:1 row_mask:0xf bank_mask:0xf// 0000000069CC: 0B3332FA FF01510B
	v_mul_f32_dpp v154, v11, v154 row_newbcast:2 row_mask:0xf bank_mask:0xf// 0000000069D4: 0B3534FA FF01520B
	v_mul_f32_dpp v155, v11, v155 row_newbcast:3 row_mask:0xf bank_mask:0xf// 0000000069DC: 0B3736FA FF01530B
	v_mul_f32_e32 v152, v17, v152                              // 0000000069E4: 0B313111
	v_mul_f32_e32 v153, v17, v153                              // 0000000069E8: 0B333311
	v_mul_f32_e32 v154, v17, v154                              // 0000000069EC: 0B353511
	v_mul_f32_e32 v155, v17, v155                              // 0000000069F0: 0B373711
	v_cvt_f32_i32_e32 v156, v156                               // 0000000069F4: 7F380B9C
	v_cvt_f32_i32_e32 v157, v157                               // 0000000069F8: 7F3A0B9D
	v_cvt_f32_i32_e32 v158, v158                               // 0000000069FC: 7F3C0B9E
	v_cvt_f32_i32_e32 v159, v159                               // 000000006A00: 7F3E0B9F
	v_mul_f32_e32 v156, v23, v156                              // 000000006A04: 0B393917
	v_mul_f32_e32 v157, v23, v157                              // 000000006A08: 0B3B3B17
	v_mul_f32_e32 v158, v23, v158                              // 000000006A0C: 0B3D3D17
	v_mul_f32_e32 v159, v23, v159                              // 000000006A10: 0B3F3F17
	v_mul_f32_dpp v156, v11, v156 row_newbcast:0 row_mask:0xf bank_mask:0xf// 000000006A14: 0B3938FA FF01500B
	v_mul_f32_dpp v157, v11, v157 row_newbcast:1 row_mask:0xf bank_mask:0xf// 000000006A1C: 0B3B3AFA FF01510B
	v_mul_f32_dpp v158, v11, v158 row_newbcast:2 row_mask:0xf bank_mask:0xf// 000000006A24: 0B3D3CFA FF01520B
	v_mul_f32_dpp v159, v11, v159 row_newbcast:3 row_mask:0xf bank_mask:0xf// 000000006A2C: 0B3F3EFA FF01530B
	v_mul_f32_e32 v156, v18, v156                              // 000000006A34: 0B393912
	v_mul_f32_e32 v157, v18, v157                              // 000000006A38: 0B3B3B12
	v_mul_f32_e32 v158, v18, v158                              // 000000006A3C: 0B3D3D12
	v_mul_f32_e32 v159, v18, v159                              // 000000006A40: 0B3F3F12
	v_cvt_f32_i32_e32 v160, v160                               // 000000006A44: 7F400BA0
	v_cvt_f32_i32_e32 v161, v161                               // 000000006A48: 7F420BA1
	v_cvt_f32_i32_e32 v162, v162                               // 000000006A4C: 7F440BA2
	v_cvt_f32_i32_e32 v163, v163                               // 000000006A50: 7F460BA3
	v_mul_f32_e32 v160, v22, v160                              // 000000006A54: 0B414116
	v_mul_f32_e32 v161, v22, v161                              // 000000006A58: 0B434316
	v_mul_f32_e32 v162, v22, v162                              // 000000006A5C: 0B454516
	v_mul_f32_e32 v163, v22, v163                              // 000000006A60: 0B474716
	v_mul_f32_dpp v160, v11, v160 row_newbcast:4 row_mask:0xf bank_mask:0xf// 000000006A64: 0B4140FA FF01540B
	v_mul_f32_dpp v161, v11, v161 row_newbcast:5 row_mask:0xf bank_mask:0xf// 000000006A6C: 0B4342FA FF01550B
	v_mul_f32_dpp v162, v11, v162 row_newbcast:6 row_mask:0xf bank_mask:0xf// 000000006A74: 0B4544FA FF01560B
	v_mul_f32_dpp v163, v11, v163 row_newbcast:7 row_mask:0xf bank_mask:0xf// 000000006A7C: 0B4746FA FF01570B
	v_mul_f32_e32 v160, v17, v160                              // 000000006A84: 0B414111
	v_mul_f32_e32 v161, v17, v161                              // 000000006A88: 0B434311
	v_mul_f32_e32 v162, v17, v162                              // 000000006A8C: 0B454511
	v_mul_f32_e32 v163, v17, v163                              // 000000006A90: 0B474711
	v_cvt_f32_i32_e32 v164, v164                               // 000000006A94: 7F480BA4
	v_cvt_f32_i32_e32 v165, v165                               // 000000006A98: 7F4A0BA5
	v_cvt_f32_i32_e32 v166, v166                               // 000000006A9C: 7F4C0BA6
	v_cvt_f32_i32_e32 v167, v167                               // 000000006AA0: 7F4E0BA7
	v_mul_f32_e32 v164, v23, v164                              // 000000006AA4: 0B494917
	v_mul_f32_e32 v165, v23, v165                              // 000000006AA8: 0B4B4B17
	v_mul_f32_e32 v166, v23, v166                              // 000000006AAC: 0B4D4D17
	v_mul_f32_e32 v167, v23, v167                              // 000000006AB0: 0B4F4F17
	v_mul_f32_dpp v164, v11, v164 row_newbcast:4 row_mask:0xf bank_mask:0xf// 000000006AB4: 0B4948FA FF01540B
	v_mul_f32_dpp v165, v11, v165 row_newbcast:5 row_mask:0xf bank_mask:0xf// 000000006ABC: 0B4B4AFA FF01550B
	v_mul_f32_dpp v166, v11, v166 row_newbcast:6 row_mask:0xf bank_mask:0xf// 000000006AC4: 0B4D4CFA FF01560B
	v_mul_f32_dpp v167, v11, v167 row_newbcast:7 row_mask:0xf bank_mask:0xf// 000000006ACC: 0B4F4EFA FF01570B
	v_mul_f32_e32 v164, v18, v164                              // 000000006AD4: 0B494912
	v_mul_f32_e32 v165, v18, v165                              // 000000006AD8: 0B4B4B12
	v_mul_f32_e32 v166, v18, v166                              // 000000006ADC: 0B4D4D12
	v_mul_f32_e32 v167, v18, v167                              // 000000006AE0: 0B4F4F12
	v_cvt_f32_i32_e32 v168, v168                               // 000000006AE4: 7F500BA8
	v_cvt_f32_i32_e32 v169, v169                               // 000000006AE8: 7F520BA9
	v_cvt_f32_i32_e32 v170, v170                               // 000000006AEC: 7F540BAA
	v_cvt_f32_i32_e32 v171, v171                               // 000000006AF0: 7F560BAB
	v_mul_f32_e32 v168, v22, v168                              // 000000006AF4: 0B515116
	v_mul_f32_e32 v169, v22, v169                              // 000000006AF8: 0B535316
	v_mul_f32_e32 v170, v22, v170                              // 000000006AFC: 0B555516
	v_mul_f32_e32 v171, v22, v171                              // 000000006B00: 0B575716
	v_mul_f32_dpp v168, v11, v168 row_newbcast:8 row_mask:0xf bank_mask:0xf// 000000006B04: 0B5150FA FF01580B
	v_mul_f32_dpp v169, v11, v169 row_newbcast:9 row_mask:0xf bank_mask:0xf// 000000006B0C: 0B5352FA FF01590B
	v_mul_f32_dpp v170, v11, v170 row_newbcast:10 row_mask:0xf bank_mask:0xf// 000000006B14: 0B5554FA FF015A0B
	v_mul_f32_dpp v171, v11, v171 row_newbcast:11 row_mask:0xf bank_mask:0xf// 000000006B1C: 0B5756FA FF015B0B
	v_mul_f32_e32 v168, v17, v168                              // 000000006B24: 0B515111
	v_mul_f32_e32 v169, v17, v169                              // 000000006B28: 0B535311
	v_mul_f32_e32 v170, v17, v170                              // 000000006B2C: 0B555511
	v_mul_f32_e32 v171, v17, v171                              // 000000006B30: 0B575711
	v_cvt_f32_i32_e32 v172, v172                               // 000000006B34: 7F580BAC
	v_cvt_f32_i32_e32 v173, v173                               // 000000006B38: 7F5A0BAD
	v_cvt_f32_i32_e32 v174, v174                               // 000000006B3C: 7F5C0BAE
	v_cvt_f32_i32_e32 v175, v175                               // 000000006B40: 7F5E0BAF
	v_mul_f32_e32 v172, v23, v172                              // 000000006B44: 0B595917
	v_mul_f32_e32 v173, v23, v173                              // 000000006B48: 0B5B5B17
	v_mul_f32_e32 v174, v23, v174                              // 000000006B4C: 0B5D5D17
	v_mul_f32_e32 v175, v23, v175                              // 000000006B50: 0B5F5F17
	v_mul_f32_dpp v172, v11, v172 row_newbcast:8 row_mask:0xf bank_mask:0xf// 000000006B54: 0B5958FA FF01580B
	v_mul_f32_dpp v173, v11, v173 row_newbcast:9 row_mask:0xf bank_mask:0xf// 000000006B5C: 0B5B5AFA FF01590B
	v_mul_f32_dpp v174, v11, v174 row_newbcast:10 row_mask:0xf bank_mask:0xf// 000000006B64: 0B5D5CFA FF015A0B
	v_mul_f32_dpp v175, v11, v175 row_newbcast:11 row_mask:0xf bank_mask:0xf// 000000006B6C: 0B5F5EFA FF015B0B
	v_mul_f32_e32 v172, v18, v172                              // 000000006B74: 0B595912
	v_mul_f32_e32 v173, v18, v173                              // 000000006B78: 0B5B5B12
	v_mul_f32_e32 v174, v18, v174                              // 000000006B7C: 0B5D5D12
	v_mul_f32_e32 v175, v18, v175                              // 000000006B80: 0B5F5F12
	v_cvt_f32_i32_e32 v176, v176                               // 000000006B84: 7F600BB0
	v_cvt_f32_i32_e32 v177, v177                               // 000000006B88: 7F620BB1
	v_cvt_f32_i32_e32 v178, v178                               // 000000006B8C: 7F640BB2
	v_cvt_f32_i32_e32 v179, v179                               // 000000006B90: 7F660BB3
	v_mul_f32_e32 v176, v22, v176                              // 000000006B94: 0B616116
	v_mul_f32_e32 v177, v22, v177                              // 000000006B98: 0B636316
	v_mul_f32_e32 v178, v22, v178                              // 000000006B9C: 0B656516
	v_mul_f32_e32 v179, v22, v179                              // 000000006BA0: 0B676716
	v_mul_f32_dpp v176, v11, v176 row_newbcast:12 row_mask:0xf bank_mask:0xf// 000000006BA4: 0B6160FA FF015C0B
	v_mul_f32_dpp v177, v11, v177 row_newbcast:13 row_mask:0xf bank_mask:0xf// 000000006BAC: 0B6362FA FF015D0B
	v_mul_f32_dpp v178, v11, v178 row_newbcast:14 row_mask:0xf bank_mask:0xf// 000000006BB4: 0B6564FA FF015E0B
	v_mul_f32_dpp v179, v11, v179 row_newbcast:15 row_mask:0xf bank_mask:0xf// 000000006BBC: 0B6766FA FF015F0B
	v_mul_f32_e32 v176, v17, v176                              // 000000006BC4: 0B616111
	v_mul_f32_e32 v177, v17, v177                              // 000000006BC8: 0B636311
	v_mul_f32_e32 v178, v17, v178                              // 000000006BCC: 0B656511
	v_mul_f32_e32 v179, v17, v179                              // 000000006BD0: 0B676711
	v_cvt_f32_i32_e32 v180, v180                               // 000000006BD4: 7F680BB4
	v_cvt_f32_i32_e32 v181, v181                               // 000000006BD8: 7F6A0BB5
	v_cvt_f32_i32_e32 v182, v182                               // 000000006BDC: 7F6C0BB6
	v_cvt_f32_i32_e32 v183, v183                               // 000000006BE0: 7F6E0BB7
	v_mul_f32_e32 v180, v23, v180                              // 000000006BE4: 0B696917
	v_mul_f32_e32 v181, v23, v181                              // 000000006BE8: 0B6B6B17
	v_mul_f32_e32 v182, v23, v182                              // 000000006BEC: 0B6D6D17
	v_mul_f32_e32 v183, v23, v183                              // 000000006BF0: 0B6F6F17
	v_mul_f32_dpp v180, v11, v180 row_newbcast:12 row_mask:0xf bank_mask:0xf// 000000006BF4: 0B6968FA FF015C0B
	v_mul_f32_dpp v181, v11, v181 row_newbcast:13 row_mask:0xf bank_mask:0xf// 000000006BFC: 0B6B6AFA FF015D0B
	v_mul_f32_dpp v182, v11, v182 row_newbcast:14 row_mask:0xf bank_mask:0xf// 000000006C04: 0B6D6CFA FF015E0B
	v_mul_f32_dpp v183, v11, v183 row_newbcast:15 row_mask:0xf bank_mask:0xf// 000000006C0C: 0B6F6EFA FF015F0B
	v_mul_f32_e32 v180, v18, v180                              // 000000006C14: 0B696912
	v_mul_f32_e32 v181, v18, v181                              // 000000006C18: 0B6B6B12
	v_mul_f32_e32 v182, v18, v182                              // 000000006C1C: 0B6D6D12
	v_mul_f32_e32 v183, v18, v183                              // 000000006C20: 0B6F6F12
	v_cvt_pkrtz_f16_f32 v152, v152, v153                       // 000000006C24: D2960098 00033398
	v_cvt_pkrtz_f16_f32 v153, v154, v155                       // 000000006C2C: D2960099 0003379A
	v_cvt_pkrtz_f16_f32 v154, v156, v157                       // 000000006C34: D296009A 00033B9C
	v_cvt_pkrtz_f16_f32 v155, v158, v159                       // 000000006C3C: D296009B 00033F9E
	v_cvt_pkrtz_f16_f32 v156, v160, v161                       // 000000006C44: D296009C 000343A0
	v_cvt_pkrtz_f16_f32 v157, v162, v163                       // 000000006C4C: D296009D 000347A2
	v_cvt_pkrtz_f16_f32 v158, v164, v165                       // 000000006C54: D296009E 00034BA4
	v_cvt_pkrtz_f16_f32 v159, v166, v167                       // 000000006C5C: D296009F 00034FA6
	v_cvt_pkrtz_f16_f32 v160, v168, v169                       // 000000006C64: D29600A0 000353A8
	v_cvt_pkrtz_f16_f32 v161, v170, v171                       // 000000006C6C: D29600A1 000357AA
	v_cvt_pkrtz_f16_f32 v162, v172, v173                       // 000000006C74: D29600A2 00035BAC
	v_cvt_pkrtz_f16_f32 v163, v174, v175                       // 000000006C7C: D29600A3 00035FAE
	v_cvt_pkrtz_f16_f32 v164, v176, v177                       // 000000006C84: D29600A4 000363B0
	v_cvt_pkrtz_f16_f32 v165, v178, v179                       // 000000006C8C: D29600A5 000367B2
	v_cvt_pkrtz_f16_f32 v166, v180, v181                       // 000000006C94: D29600A6 00036BB4
	v_cvt_pkrtz_f16_f32 v167, v182, v183                       // 000000006C9C: D29600A7 00036FB6
	ds_write_b64 v3, v[152:153] offset:24832                   // 000000006CA4: D89A6100 00009803
	ds_write_b64 v3, v[154:155] offset:33536                   // 000000006CAC: D89A8300 00009A03
	ds_write_b64 v3, v[156:157] offset:27008                   // 000000006CB4: D89A6980 00009C03
	ds_write_b64 v3, v[158:159] offset:35712                   // 000000006CBC: D89A8B80 00009E03
	ds_write_b64 v3, v[160:161] offset:29184                   // 000000006CC4: D89A7200 0000A003
	ds_write_b64 v3, v[162:163] offset:37888                   // 000000006CCC: D89A9400 0000A203
	ds_write_b64 v3, v[164:165] offset:31360                   // 000000006CD4: D89A7A80 0000A403
	ds_write_b64 v3, v[166:167] offset:40064                   // 000000006CDC: D89A9C80 0000A603
	s_waitcnt lgkmcnt(0)                                       // 000000006CE4: BF8CC07F
	s_barrier                                                  // 000000006CE8: BF8A0000
	ds_read_b32 v64, v4 offset:24832                           // 000000006CEC: D86C6100 40000004
	ds_read_b32 v65, v4 offset:29184                           // 000000006CF4: D86C7200 41000004
	ds_read_b32 v66, v4 offset:24864                           // 000000006CFC: D86C6120 42000004
	ds_read_b32 v67, v4 offset:29216                           // 000000006D04: D86C7220 43000004
	ds_read_b32 v68, v4 offset:24896                           // 000000006D0C: D86C6140 44000004
	ds_read_b32 v69, v4 offset:29248                           // 000000006D14: D86C7240 45000004
	ds_read_b32 v70, v4 offset:24928                           // 000000006D1C: D86C6160 46000004
	ds_read_b32 v71, v4 offset:29280                           // 000000006D24: D86C7260 47000004
	ds_read_b32 v72, v4 offset:33536                           // 000000006D2C: D86C8300 48000004
	ds_read_b32 v73, v4 offset:37888                           // 000000006D34: D86C9400 49000004
	ds_read_b32 v74, v4 offset:33568                           // 000000006D3C: D86C8320 4A000004
	ds_read_b32 v75, v4 offset:37920                           // 000000006D44: D86C9420 4B000004
	ds_read_b32 v76, v4 offset:33600                           // 000000006D4C: D86C8340 4C000004
	ds_read_b32 v77, v4 offset:37952                           // 000000006D54: D86C9440 4D000004
	ds_read_b32 v78, v4 offset:33632                           // 000000006D5C: D86C8360 4E000004
	ds_read_b32 v79, v4 offset:37984                           // 000000006D64: D86C9460 4F000004
	s_waitcnt lgkmcnt(0)                                       // 000000006D6C: BF8CC07F
	s_mov_b64 exec, s[20:21]                                   // 000000006D70: BEFE0114
	global_atomic_pk_add_f16 v80, v64, s[8:9]                  // 000000006D74: DD388000 00084050
	s_mov_b64 exec, s[36:37]                                   // 000000006D7C: BEFE0124
	s_mov_b64 exec, s[20:21]                                   // 000000006D80: BEFE0114
	global_atomic_pk_add_f16 v80, v65, s[8:9] offset:256       // 000000006D84: DD388100 00084150
	s_mov_b64 exec, s[36:37]                                   // 000000006D8C: BEFE0124
	s_mov_b64 exec, s[22:23]                                   // 000000006D90: BEFE0116
	global_atomic_pk_add_f16 v82, v66, s[8:9]                  // 000000006D94: DD388000 00084252
	s_mov_b64 exec, s[36:37]                                   // 000000006D9C: BEFE0124
	s_mov_b64 exec, s[22:23]                                   // 000000006DA0: BEFE0116
	global_atomic_pk_add_f16 v82, v67, s[8:9] offset:256       // 000000006DA4: DD388100 00084352
	s_mov_b64 exec, s[36:37]                                   // 000000006DAC: BEFE0124
	s_mov_b64 exec, s[24:25]                                   // 000000006DB0: BEFE0118
	global_atomic_pk_add_f16 v84, v68, s[8:9]                  // 000000006DB4: DD388000 00084454
	s_mov_b64 exec, s[36:37]                                   // 000000006DBC: BEFE0124
	s_mov_b64 exec, s[24:25]                                   // 000000006DC0: BEFE0118
	global_atomic_pk_add_f16 v84, v69, s[8:9] offset:256       // 000000006DC4: DD388100 00084554
	s_mov_b64 exec, s[36:37]                                   // 000000006DCC: BEFE0124
	s_mov_b64 exec, s[26:27]                                   // 000000006DD0: BEFE011A
	global_atomic_pk_add_f16 v86, v70, s[8:9]                  // 000000006DD4: DD388000 00084656
	s_mov_b64 exec, s[36:37]                                   // 000000006DDC: BEFE0124
	s_mov_b64 exec, s[26:27]                                   // 000000006DE0: BEFE011A
	global_atomic_pk_add_f16 v86, v71, s[8:9] offset:256       // 000000006DE4: DD388100 00084756
	s_mov_b64 exec, s[36:37]                                   // 000000006DEC: BEFE0124
	s_mov_b64 exec, s[28:29]                                   // 000000006DF0: BEFE011C
	global_atomic_pk_add_f16 v88, v72, s[8:9]                  // 000000006DF4: DD388000 00084858
	s_mov_b64 exec, s[36:37]                                   // 000000006DFC: BEFE0124
	s_mov_b64 exec, s[28:29]                                   // 000000006E00: BEFE011C
	global_atomic_pk_add_f16 v88, v73, s[8:9] offset:256       // 000000006E04: DD388100 00084958
	s_mov_b64 exec, s[36:37]                                   // 000000006E0C: BEFE0124
	s_mov_b64 exec, s[30:31]                                   // 000000006E10: BEFE011E
	global_atomic_pk_add_f16 v90, v74, s[8:9]                  // 000000006E14: DD388000 00084A5A
	s_mov_b64 exec, s[36:37]                                   // 000000006E1C: BEFE0124
	s_mov_b64 exec, s[30:31]                                   // 000000006E20: BEFE011E
	global_atomic_pk_add_f16 v90, v75, s[8:9] offset:256       // 000000006E24: DD388100 00084B5A
	s_mov_b64 exec, s[36:37]                                   // 000000006E2C: BEFE0124
	s_mov_b64 exec, s[32:33]                                   // 000000006E30: BEFE0120
	global_atomic_pk_add_f16 v92, v76, s[8:9]                  // 000000006E34: DD388000 00084C5C
	s_mov_b64 exec, s[36:37]                                   // 000000006E3C: BEFE0124
	s_mov_b64 exec, s[32:33]                                   // 000000006E40: BEFE0120
	global_atomic_pk_add_f16 v92, v77, s[8:9] offset:256       // 000000006E44: DD388100 00084D5C
	s_mov_b64 exec, s[36:37]                                   // 000000006E4C: BEFE0124
	s_mov_b64 exec, s[34:35]                                   // 000000006E50: BEFE0122
	global_atomic_pk_add_f16 v94, v78, s[8:9]                  // 000000006E54: DD388000 00084E5E
	s_mov_b64 exec, s[36:37]                                   // 000000006E5C: BEFE0124
	s_mov_b64 exec, s[34:35]                                   // 000000006E60: BEFE0122
	global_atomic_pk_add_f16 v94, v79, s[8:9] offset:256       // 000000006E64: DD388100 00084F5E
	s_mov_b64 exec, s[36:37]                                   // 000000006E6C: BEFE0124
	s_add_u32 s8, s59, s8                                      // 000000006E70: 8008083B
	s_addc_u32 s9, 0, s9                                       // 000000006E74: 82090980
	s_addk_i32 s80, 0x100                                      // 000000006E78: B7500100
	s_cmp_lt_i32 s80, s81                                      // 000000006E7C: BF045150
	s_cbranch_scc0 label_0A19                                  // 000000006E80: BF84F9F8
	s_waitcnt vmcnt(25)                                        // 000000006E84: BF8C4F79
	s_barrier                                                  // 000000006E88: BF8A0000
	v_mfma_i32_16x16x32_i8 v[184:187], a[48:49], v[128:129], 0 // 000000006E8C: D3D700B8 0A030130
	buffer_load_dwordx4 a[0:3], v35, s[12:15], 0 offen         // 000000006E94: E05C1000 80830023
	v_mfma_i32_16x16x32_i8 v[184:187], a[50:51], v[130:131], v[184:187]// 000000006E9C: D3D700B8 0EE30532
	v_mfma_i32_16x16x32_i8 v[188:191], a[48:49], v[140:141], 0 // 000000006EA4: D3D700BC 0A031930
	v_mfma_i32_16x16x32_i8 v[188:191], a[50:51], v[142:143], v[188:191]// 000000006EAC: D3D700BC 0EF31D32
	v_mfma_i32_16x16x32_i8 v[192:195], a[52:53], v[128:129], 0 // 000000006EB4: D3D700C0 0A030134
	buffer_load_dwordx4 a[4:7], v36, s[12:15], 0 offen         // 000000006EBC: E05C1000 80830424
	v_mfma_i32_16x16x32_i8 v[192:195], a[54:55], v[130:131], v[192:195]// 000000006EC4: D3D700C0 0F030536
	v_mfma_i32_16x16x32_i8 v[196:199], a[52:53], v[140:141], 0 // 000000006ECC: D3D700C4 0A031934
	v_mfma_i32_16x16x32_i8 v[196:199], a[54:55], v[142:143], v[196:199]// 000000006ED4: D3D700C4 0F131D36
	v_mfma_i32_16x16x32_i8 v[200:203], a[56:57], v[128:129], 0 // 000000006EDC: D3D700C8 0A030138
	buffer_load_dwordx4 a[8:11], v37, s[12:15], 0 offen        // 000000006EE4: E05C1000 80830825
	v_mfma_i32_16x16x32_i8 v[200:203], a[58:59], v[130:131], v[200:203]// 000000006EEC: D3D700C8 0F23053A
	v_mfma_i32_16x16x32_i8 v[204:207], a[56:57], v[140:141], 0 // 000000006EF4: D3D700CC 0A031938
	v_mfma_i32_16x16x32_i8 v[204:207], a[58:59], v[142:143], v[204:207]// 000000006EFC: D3D700CC 0F331D3A
	v_mfma_i32_16x16x32_i8 v[208:211], a[60:61], v[128:129], 0 // 000000006F04: D3D700D0 0A03013C
	buffer_load_dwordx4 a[12:15], v38, s[12:15], 0 offen       // 000000006F0C: E05C1000 80830C26
	s_add_u32 s12, s78, s12                                    // 000000006F14: 800C0C4E
	s_addc_u32 s13, 0, s13                                     // 000000006F18: 820D0D80
	v_mfma_i32_16x16x32_i8 v[208:211], a[62:63], v[130:131], v[208:211]// 000000006F1C: D3D700D0 0F43053E
	v_mfma_i32_16x16x32_i8 v[212:215], a[60:61], v[140:141], 0 // 000000006F24: D3D700D4 0A03193C
	v_mfma_i32_16x16x32_i8 v[212:215], a[62:63], v[142:143], v[212:215]// 000000006F2C: D3D700D4 0F531D3E
	s_waitcnt vmcnt(25)                                        // 000000006F34: BF8C4F79
	v_mfma_i32_16x16x32_i8 v[184:187], a[64:65], v[132:133], v[184:187]// 000000006F38: D3D700B8 0EE30940
	buffer_load_dwordx4 a[16:19], v35, s[12:15], 0 offen       // 000000006F40: E05C1000 80831023
	v_mfma_i32_16x16x32_i8 v[184:187], a[66:67], v[134:135], v[184:187]// 000000006F48: D3D700B8 0EE30D42
	v_mfma_i32_16x16x32_i8 v[188:191], a[64:65], v[144:145], v[188:191]// 000000006F50: D3D700BC 0EF32140
	v_mfma_i32_16x16x32_i8 v[188:191], a[66:67], v[146:147], v[188:191]// 000000006F58: D3D700BC 0EF32542
	v_mfma_i32_16x16x32_i8 v[192:195], a[68:69], v[132:133], v[192:195]// 000000006F60: D3D700C0 0F030944
	buffer_load_dwordx4 a[20:23], v36, s[12:15], 0 offen       // 000000006F68: E05C1000 80831424
	v_mfma_i32_16x16x32_i8 v[192:195], a[70:71], v[134:135], v[192:195]// 000000006F70: D3D700C0 0F030D46
	v_mfma_i32_16x16x32_i8 v[196:199], a[68:69], v[144:145], v[196:199]// 000000006F78: D3D700C4 0F132144
	v_mfma_i32_16x16x32_i8 v[196:199], a[70:71], v[146:147], v[196:199]// 000000006F80: D3D700C4 0F132546
	v_mfma_i32_16x16x32_i8 v[200:203], a[72:73], v[132:133], v[200:203]// 000000006F88: D3D700C8 0F230948
	buffer_load_dwordx4 a[24:27], v37, s[12:15], 0 offen       // 000000006F90: E05C1000 80831825
	v_mfma_i32_16x16x32_i8 v[200:203], a[74:75], v[134:135], v[200:203]// 000000006F98: D3D700C8 0F230D4A
	v_mfma_i32_16x16x32_i8 v[204:207], a[72:73], v[144:145], v[204:207]// 000000006FA0: D3D700CC 0F332148
	v_mfma_i32_16x16x32_i8 v[204:207], a[74:75], v[146:147], v[204:207]// 000000006FA8: D3D700CC 0F33254A
	v_mfma_i32_16x16x32_i8 v[208:211], a[76:77], v[132:133], v[208:211]// 000000006FB0: D3D700D0 0F43094C
	buffer_load_dwordx4 a[28:31], v38, s[12:15], 0 offen       // 000000006FB8: E05C1000 80831C26
	s_add_u32 s12, s78, s12                                    // 000000006FC0: 800C0C4E
	s_addc_u32 s13, 0, s13                                     // 000000006FC4: 820D0D80
	v_mfma_i32_16x16x32_i8 v[208:211], a[78:79], v[134:135], v[208:211]// 000000006FC8: D3D700D0 0F430D4E
	v_mfma_i32_16x16x32_i8 v[212:215], a[76:77], v[144:145], v[212:215]// 000000006FD0: D3D700D4 0F53214C
	v_mfma_i32_16x16x32_i8 v[212:215], a[78:79], v[146:147], v[212:215]// 000000006FD8: D3D700D4 0F53254E
	s_waitcnt vmcnt(24)                                        // 000000006FE0: BF8C4F78
	v_mfma_i32_16x16x32_i8 v[184:187], a[80:81], v[136:137], v[184:187]// 000000006FE4: D3D700B8 0EE31150
	buffer_load_dwordx4 a[32:35], v35, s[12:15], 0 offen       // 000000006FEC: E05C1000 80832023
	v_mfma_i32_16x16x32_i8 v[184:187], a[82:83], v[138:139], v[184:187]// 000000006FF4: D3D700B8 0EE31552
	v_mfma_i32_16x16x32_i8 v[188:191], a[80:81], v[148:149], v[188:191]// 000000006FFC: D3D700BC 0EF32950
	buffer_load_dword v11, v5, s[16:19], 0 offen               // 000000007004: E0501000 80040B05
	v_mfma_i32_16x16x32_i8 v[188:191], a[82:83], v[150:151], v[188:191]// 00000000700C: D3D700BC 0EF32D52
	v_mfma_i32_16x16x32_i8 v[192:195], a[84:85], v[136:137], v[192:195]// 000000007014: D3D700C0 0F031154
	buffer_load_dwordx4 a[36:39], v36, s[12:15], 0 offen       // 00000000701C: E05C1000 80832424
	v_mfma_i32_16x16x32_i8 v[192:195], a[86:87], v[138:139], v[192:195]// 000000007024: D3D700C0 0F031556
	v_mfma_i32_16x16x32_i8 v[196:199], a[84:85], v[148:149], v[196:199]// 00000000702C: D3D700C4 0F132954
	v_mfma_i32_16x16x32_i8 v[196:199], a[86:87], v[150:151], v[196:199]// 000000007034: D3D700C4 0F132D56
	v_mfma_i32_16x16x32_i8 v[200:203], a[88:89], v[136:137], v[200:203]// 00000000703C: D3D700C8 0F231158
	buffer_load_dwordx4 a[40:43], v37, s[12:15], 0 offen       // 000000007044: E05C1000 80832825
	v_mfma_i32_16x16x32_i8 v[200:203], a[90:91], v[138:139], v[200:203]// 00000000704C: D3D700C8 0F23155A
	v_mfma_i32_16x16x32_i8 v[204:207], a[88:89], v[148:149], v[204:207]// 000000007054: D3D700CC 0F332958
	v_mfma_i32_16x16x32_i8 v[204:207], a[90:91], v[150:151], v[204:207]// 00000000705C: D3D700CC 0F332D5A
	v_mfma_i32_16x16x32_i8 v[208:211], a[92:93], v[136:137], v[208:211]// 000000007064: D3D700D0 0F43115C
	buffer_load_dwordx4 a[44:47], v38, s[12:15], 0 offen       // 00000000706C: E05C1000 80832C26
	v_mfma_i32_16x16x32_i8 v[208:211], a[94:95], v[138:139], v[208:211]// 000000007074: D3D700D0 0F43155E
	v_mfma_i32_16x16x32_i8 v[212:215], a[92:93], v[148:149], v[212:215]// 00000000707C: D3D700D4 0F53295C
	v_mfma_i32_16x16x32_i8 v[212:215], a[94:95], v[150:151], v[212:215]// 000000007084: D3D700D4 0F532D5E
	s_add_u32 s60, 0x200, s80                                  // 00000000708C: 803C50FF 00000200
	s_cmp_lt_u32 s60, s81                                      // 000000007094: BF0A513C
	s_cselect_b32 s56, s56, 0                                  // 000000007098: 85388038
	s_cselect_b32 s78, s78, 0                                  // 00000000709C: 854E804E
	s_cselect_b32 s79, s79, 0                                  // 0000000070A0: 854F804F
	s_add_u32 s12, s56, s12                                    // 0000000070A4: 800C0C38
	s_addc_u32 s13, 0, s13                                     // 0000000070A8: 820D0D80
	s_add_u32 s16, s79, s16                                    // 0000000070AC: 8010104F
	s_addc_u32 s17, 0, s17                                     // 0000000070B0: 82111180
	v_cvt_f32_i32_e32 v184, v184                               // 0000000070B4: 7F700BB8
	v_cvt_f32_i32_e32 v185, v185                               // 0000000070B8: 7F720BB9
	v_cvt_f32_i32_e32 v186, v186                               // 0000000070BC: 7F740BBA
	v_cvt_f32_i32_e32 v187, v187                               // 0000000070C0: 7F760BBB
	v_mul_f32_e32 v184, v22, v184                              // 0000000070C4: 0B717116
	v_mul_f32_e32 v185, v22, v185                              // 0000000070C8: 0B737316
	v_mul_f32_e32 v186, v22, v186                              // 0000000070CC: 0B757516
	v_mul_f32_e32 v187, v22, v187                              // 0000000070D0: 0B777716
	v_mul_f32_dpp v184, v12, v184 row_newbcast:0 row_mask:0xf bank_mask:0xf// 0000000070D4: 0B7170FA FF01500C
	v_mul_f32_dpp v185, v12, v185 row_newbcast:1 row_mask:0xf bank_mask:0xf// 0000000070DC: 0B7372FA FF01510C
	v_mul_f32_dpp v186, v12, v186 row_newbcast:2 row_mask:0xf bank_mask:0xf// 0000000070E4: 0B7574FA FF01520C
	v_mul_f32_dpp v187, v12, v187 row_newbcast:3 row_mask:0xf bank_mask:0xf// 0000000070EC: 0B7776FA FF01530C
	v_mul_f32_e32 v184, v17, v184                              // 0000000070F4: 0B717111
	v_mul_f32_e32 v185, v17, v185                              // 0000000070F8: 0B737311
	v_mul_f32_e32 v186, v17, v186                              // 0000000070FC: 0B757511
	v_mul_f32_e32 v187, v17, v187                              // 000000007100: 0B777711
	v_cvt_f32_i32_e32 v188, v188                               // 000000007104: 7F780BBC
	v_cvt_f32_i32_e32 v189, v189                               // 000000007108: 7F7A0BBD
	v_cvt_f32_i32_e32 v190, v190                               // 00000000710C: 7F7C0BBE
	v_cvt_f32_i32_e32 v191, v191                               // 000000007110: 7F7E0BBF
	v_mul_f32_e32 v188, v23, v188                              // 000000007114: 0B797917
	v_mul_f32_e32 v189, v23, v189                              // 000000007118: 0B7B7B17
	v_mul_f32_e32 v190, v23, v190                              // 00000000711C: 0B7D7D17
	v_mul_f32_e32 v191, v23, v191                              // 000000007120: 0B7F7F17
	v_mul_f32_dpp v188, v12, v188 row_newbcast:0 row_mask:0xf bank_mask:0xf// 000000007124: 0B7978FA FF01500C
	v_mul_f32_dpp v189, v12, v189 row_newbcast:1 row_mask:0xf bank_mask:0xf// 00000000712C: 0B7B7AFA FF01510C
	v_mul_f32_dpp v190, v12, v190 row_newbcast:2 row_mask:0xf bank_mask:0xf// 000000007134: 0B7D7CFA FF01520C
	v_mul_f32_dpp v191, v12, v191 row_newbcast:3 row_mask:0xf bank_mask:0xf// 00000000713C: 0B7F7EFA FF01530C
	v_mul_f32_e32 v188, v18, v188                              // 000000007144: 0B797912
	v_mul_f32_e32 v189, v18, v189                              // 000000007148: 0B7B7B12
	v_mul_f32_e32 v190, v18, v190                              // 00000000714C: 0B7D7D12
	v_mul_f32_e32 v191, v18, v191                              // 000000007150: 0B7F7F12
	v_cvt_f32_i32_e32 v192, v192                               // 000000007154: 7F800BC0
	v_cvt_f32_i32_e32 v193, v193                               // 000000007158: 7F820BC1
	v_cvt_f32_i32_e32 v194, v194                               // 00000000715C: 7F840BC2
	v_cvt_f32_i32_e32 v195, v195                               // 000000007160: 7F860BC3
	v_mul_f32_e32 v192, v22, v192                              // 000000007164: 0B818116
	v_mul_f32_e32 v193, v22, v193                              // 000000007168: 0B838316
	v_mul_f32_e32 v194, v22, v194                              // 00000000716C: 0B858516
	v_mul_f32_e32 v195, v22, v195                              // 000000007170: 0B878716
	v_mul_f32_dpp v192, v12, v192 row_newbcast:4 row_mask:0xf bank_mask:0xf// 000000007174: 0B8180FA FF01540C
	v_mul_f32_dpp v193, v12, v193 row_newbcast:5 row_mask:0xf bank_mask:0xf// 00000000717C: 0B8382FA FF01550C
	v_mul_f32_dpp v194, v12, v194 row_newbcast:6 row_mask:0xf bank_mask:0xf// 000000007184: 0B8584FA FF01560C
	v_mul_f32_dpp v195, v12, v195 row_newbcast:7 row_mask:0xf bank_mask:0xf// 00000000718C: 0B8786FA FF01570C
	v_mul_f32_e32 v192, v17, v192                              // 000000007194: 0B818111
	v_mul_f32_e32 v193, v17, v193                              // 000000007198: 0B838311
	v_mul_f32_e32 v194, v17, v194                              // 00000000719C: 0B858511
	v_mul_f32_e32 v195, v17, v195                              // 0000000071A0: 0B878711
	v_cvt_f32_i32_e32 v196, v196                               // 0000000071A4: 7F880BC4
	v_cvt_f32_i32_e32 v197, v197                               // 0000000071A8: 7F8A0BC5
	v_cvt_f32_i32_e32 v198, v198                               // 0000000071AC: 7F8C0BC6
	v_cvt_f32_i32_e32 v199, v199                               // 0000000071B0: 7F8E0BC7
	v_mul_f32_e32 v196, v23, v196                              // 0000000071B4: 0B898917
	v_mul_f32_e32 v197, v23, v197                              // 0000000071B8: 0B8B8B17
	v_mul_f32_e32 v198, v23, v198                              // 0000000071BC: 0B8D8D17
	v_mul_f32_e32 v199, v23, v199                              // 0000000071C0: 0B8F8F17
	v_mul_f32_dpp v196, v12, v196 row_newbcast:4 row_mask:0xf bank_mask:0xf// 0000000071C4: 0B8988FA FF01540C
	v_mul_f32_dpp v197, v12, v197 row_newbcast:5 row_mask:0xf bank_mask:0xf// 0000000071CC: 0B8B8AFA FF01550C
	v_mul_f32_dpp v198, v12, v198 row_newbcast:6 row_mask:0xf bank_mask:0xf// 0000000071D4: 0B8D8CFA FF01560C
	v_mul_f32_dpp v199, v12, v199 row_newbcast:7 row_mask:0xf bank_mask:0xf// 0000000071DC: 0B8F8EFA FF01570C
	v_mul_f32_e32 v196, v18, v196                              // 0000000071E4: 0B898912
	v_mul_f32_e32 v197, v18, v197                              // 0000000071E8: 0B8B8B12
	v_mul_f32_e32 v198, v18, v198                              // 0000000071EC: 0B8D8D12
	v_mul_f32_e32 v199, v18, v199                              // 0000000071F0: 0B8F8F12
	v_cvt_f32_i32_e32 v200, v200                               // 0000000071F4: 7F900BC8
	v_cvt_f32_i32_e32 v201, v201                               // 0000000071F8: 7F920BC9
	v_cvt_f32_i32_e32 v202, v202                               // 0000000071FC: 7F940BCA
	v_cvt_f32_i32_e32 v203, v203                               // 000000007200: 7F960BCB
	v_mul_f32_e32 v200, v22, v200                              // 000000007204: 0B919116
	v_mul_f32_e32 v201, v22, v201                              // 000000007208: 0B939316
	v_mul_f32_e32 v202, v22, v202                              // 00000000720C: 0B959516
	v_mul_f32_e32 v203, v22, v203                              // 000000007210: 0B979716
	v_mul_f32_dpp v200, v12, v200 row_newbcast:8 row_mask:0xf bank_mask:0xf// 000000007214: 0B9190FA FF01580C
	v_mul_f32_dpp v201, v12, v201 row_newbcast:9 row_mask:0xf bank_mask:0xf// 00000000721C: 0B9392FA FF01590C
	v_mul_f32_dpp v202, v12, v202 row_newbcast:10 row_mask:0xf bank_mask:0xf// 000000007224: 0B9594FA FF015A0C
	v_mul_f32_dpp v203, v12, v203 row_newbcast:11 row_mask:0xf bank_mask:0xf// 00000000722C: 0B9796FA FF015B0C
	v_mul_f32_e32 v200, v17, v200                              // 000000007234: 0B919111
	v_mul_f32_e32 v201, v17, v201                              // 000000007238: 0B939311
	v_mul_f32_e32 v202, v17, v202                              // 00000000723C: 0B959511
	v_mul_f32_e32 v203, v17, v203                              // 000000007240: 0B979711
	v_cvt_f32_i32_e32 v204, v204                               // 000000007244: 7F980BCC
	v_cvt_f32_i32_e32 v205, v205                               // 000000007248: 7F9A0BCD
	v_cvt_f32_i32_e32 v206, v206                               // 00000000724C: 7F9C0BCE
	v_cvt_f32_i32_e32 v207, v207                               // 000000007250: 7F9E0BCF
	v_mul_f32_e32 v204, v23, v204                              // 000000007254: 0B999917
	v_mul_f32_e32 v205, v23, v205                              // 000000007258: 0B9B9B17
	v_mul_f32_e32 v206, v23, v206                              // 00000000725C: 0B9D9D17
	v_mul_f32_e32 v207, v23, v207                              // 000000007260: 0B9F9F17
	v_mul_f32_dpp v204, v12, v204 row_newbcast:8 row_mask:0xf bank_mask:0xf// 000000007264: 0B9998FA FF01580C
	v_mul_f32_dpp v205, v12, v205 row_newbcast:9 row_mask:0xf bank_mask:0xf// 00000000726C: 0B9B9AFA FF01590C
	v_mul_f32_dpp v206, v12, v206 row_newbcast:10 row_mask:0xf bank_mask:0xf// 000000007274: 0B9D9CFA FF015A0C
	v_mul_f32_dpp v207, v12, v207 row_newbcast:11 row_mask:0xf bank_mask:0xf// 00000000727C: 0B9F9EFA FF015B0C
	v_mul_f32_e32 v204, v18, v204                              // 000000007284: 0B999912
	v_mul_f32_e32 v205, v18, v205                              // 000000007288: 0B9B9B12
	v_mul_f32_e32 v206, v18, v206                              // 00000000728C: 0B9D9D12
	v_mul_f32_e32 v207, v18, v207                              // 000000007290: 0B9F9F12
	v_cvt_f32_i32_e32 v208, v208                               // 000000007294: 7FA00BD0
	v_cvt_f32_i32_e32 v209, v209                               // 000000007298: 7FA20BD1
	v_cvt_f32_i32_e32 v210, v210                               // 00000000729C: 7FA40BD2
	v_cvt_f32_i32_e32 v211, v211                               // 0000000072A0: 7FA60BD3
	v_mul_f32_e32 v208, v22, v208                              // 0000000072A4: 0BA1A116
	v_mul_f32_e32 v209, v22, v209                              // 0000000072A8: 0BA3A316
	v_mul_f32_e32 v210, v22, v210                              // 0000000072AC: 0BA5A516
	v_mul_f32_e32 v211, v22, v211                              // 0000000072B0: 0BA7A716
	v_mul_f32_dpp v208, v12, v208 row_newbcast:12 row_mask:0xf bank_mask:0xf// 0000000072B4: 0BA1A0FA FF015C0C
	v_mul_f32_dpp v209, v12, v209 row_newbcast:13 row_mask:0xf bank_mask:0xf// 0000000072BC: 0BA3A2FA FF015D0C
	v_mul_f32_dpp v210, v12, v210 row_newbcast:14 row_mask:0xf bank_mask:0xf// 0000000072C4: 0BA5A4FA FF015E0C
	v_mul_f32_dpp v211, v12, v211 row_newbcast:15 row_mask:0xf bank_mask:0xf// 0000000072CC: 0BA7A6FA FF015F0C
	v_mul_f32_e32 v208, v17, v208                              // 0000000072D4: 0BA1A111
	v_mul_f32_e32 v209, v17, v209                              // 0000000072D8: 0BA3A311
	v_mul_f32_e32 v210, v17, v210                              // 0000000072DC: 0BA5A511
	v_mul_f32_e32 v211, v17, v211                              // 0000000072E0: 0BA7A711
	v_cvt_f32_i32_e32 v212, v212                               // 0000000072E4: 7FA80BD4
	v_cvt_f32_i32_e32 v213, v213                               // 0000000072E8: 7FAA0BD5
	v_cvt_f32_i32_e32 v214, v214                               // 0000000072EC: 7FAC0BD6
	v_cvt_f32_i32_e32 v215, v215                               // 0000000072F0: 7FAE0BD7
	v_mul_f32_e32 v212, v23, v212                              // 0000000072F4: 0BA9A917
	v_mul_f32_e32 v213, v23, v213                              // 0000000072F8: 0BABAB17
	v_mul_f32_e32 v214, v23, v214                              // 0000000072FC: 0BADAD17
	v_mul_f32_e32 v215, v23, v215                              // 000000007300: 0BAFAF17
	v_mul_f32_dpp v212, v12, v212 row_newbcast:12 row_mask:0xf bank_mask:0xf// 000000007304: 0BA9A8FA FF015C0C
	v_mul_f32_dpp v213, v12, v213 row_newbcast:13 row_mask:0xf bank_mask:0xf// 00000000730C: 0BABAAFA FF015D0C
	v_mul_f32_dpp v214, v12, v214 row_newbcast:14 row_mask:0xf bank_mask:0xf// 000000007314: 0BADACFA FF015E0C
	v_mul_f32_dpp v215, v12, v215 row_newbcast:15 row_mask:0xf bank_mask:0xf// 00000000731C: 0BAFAEFA FF015F0C
	v_mul_f32_e32 v212, v18, v212                              // 000000007324: 0BA9A912
	v_mul_f32_e32 v213, v18, v213                              // 000000007328: 0BABAB12
	v_mul_f32_e32 v214, v18, v214                              // 00000000732C: 0BADAD12
	v_mul_f32_e32 v215, v18, v215                              // 000000007330: 0BAFAF12
	v_cvt_pkrtz_f16_f32 v184, v184, v185                       // 000000007334: D29600B8 000373B8
	v_cvt_pkrtz_f16_f32 v185, v186, v187                       // 00000000733C: D29600B9 000377BA
	v_cvt_pkrtz_f16_f32 v186, v188, v189                       // 000000007344: D29600BA 00037BBC
	v_cvt_pkrtz_f16_f32 v187, v190, v191                       // 00000000734C: D29600BB 00037FBE
	v_cvt_pkrtz_f16_f32 v188, v192, v193                       // 000000007354: D29600BC 000383C0
	v_cvt_pkrtz_f16_f32 v189, v194, v195                       // 00000000735C: D29600BD 000387C2
	v_cvt_pkrtz_f16_f32 v190, v196, v197                       // 000000007364: D29600BE 00038BC4
	v_cvt_pkrtz_f16_f32 v191, v198, v199                       // 00000000736C: D29600BF 00038FC6
	v_cvt_pkrtz_f16_f32 v192, v200, v201                       // 000000007374: D29600C0 000393C8
	v_cvt_pkrtz_f16_f32 v193, v202, v203                       // 00000000737C: D29600C1 000397CA
	v_cvt_pkrtz_f16_f32 v194, v204, v205                       // 000000007384: D29600C2 00039BCC
	v_cvt_pkrtz_f16_f32 v195, v206, v207                       // 00000000738C: D29600C3 00039FCE
	v_cvt_pkrtz_f16_f32 v196, v208, v209                       // 000000007394: D29600C4 0003A3D0
	v_cvt_pkrtz_f16_f32 v197, v210, v211                       // 00000000739C: D29600C5 0003A7D2
	v_cvt_pkrtz_f16_f32 v198, v212, v213                       // 0000000073A4: D29600C6 0003ABD4
	v_cvt_pkrtz_f16_f32 v199, v214, v215                       // 0000000073AC: D29600C7 0003AFD6
	ds_write_b64 v3, v[184:185] offset:24832                   // 0000000073B4: D89A6100 0000B803
	ds_write_b64 v3, v[186:187] offset:33536                   // 0000000073BC: D89A8300 0000BA03
	ds_write_b64 v3, v[188:189] offset:27008                   // 0000000073C4: D89A6980 0000BC03
	ds_write_b64 v3, v[190:191] offset:35712                   // 0000000073CC: D89A8B80 0000BE03
	ds_write_b64 v3, v[192:193] offset:29184                   // 0000000073D4: D89A7200 0000C003
	ds_write_b64 v3, v[194:195] offset:37888                   // 0000000073DC: D89A9400 0000C203
	ds_write_b64 v3, v[196:197] offset:31360                   // 0000000073E4: D89A7A80 0000C403
	ds_write_b64 v3, v[198:199] offset:40064                   // 0000000073EC: D89A9C80 0000C603
	s_waitcnt lgkmcnt(0)                                       // 0000000073F4: BF8CC07F
	s_barrier                                                  // 0000000073F8: BF8A0000
	ds_read_b32 v64, v4 offset:24832                           // 0000000073FC: D86C6100 40000004
	ds_read_b32 v65, v4 offset:29184                           // 000000007404: D86C7200 41000004
	ds_read_b32 v66, v4 offset:24864                           // 00000000740C: D86C6120 42000004
	ds_read_b32 v67, v4 offset:29216                           // 000000007414: D86C7220 43000004
	ds_read_b32 v68, v4 offset:24896                           // 00000000741C: D86C6140 44000004
	ds_read_b32 v69, v4 offset:29248                           // 000000007424: D86C7240 45000004
	ds_read_b32 v70, v4 offset:24928                           // 00000000742C: D86C6160 46000004
	ds_read_b32 v71, v4 offset:29280                           // 000000007434: D86C7260 47000004
	ds_read_b32 v72, v4 offset:33536                           // 00000000743C: D86C8300 48000004
	ds_read_b32 v73, v4 offset:37888                           // 000000007444: D86C9400 49000004
	ds_read_b32 v74, v4 offset:33568                           // 00000000744C: D86C8320 4A000004
	ds_read_b32 v75, v4 offset:37920                           // 000000007454: D86C9420 4B000004
	ds_read_b32 v76, v4 offset:33600                           // 00000000745C: D86C8340 4C000004
	ds_read_b32 v77, v4 offset:37952                           // 000000007464: D86C9440 4D000004
	ds_read_b32 v78, v4 offset:33632                           // 00000000746C: D86C8360 4E000004
	ds_read_b32 v79, v4 offset:37984                           // 000000007474: D86C9460 4F000004
	s_waitcnt lgkmcnt(0)                                       // 00000000747C: BF8CC07F
	s_mov_b64 exec, s[20:21]                                   // 000000007480: BEFE0114
	global_atomic_pk_add_f16 v80, v64, s[8:9]                  // 000000007484: DD388000 00084050
	s_mov_b64 exec, s[36:37]                                   // 00000000748C: BEFE0124
	s_mov_b64 exec, s[20:21]                                   // 000000007490: BEFE0114
	global_atomic_pk_add_f16 v80, v65, s[8:9] offset:256       // 000000007494: DD388100 00084150
	s_mov_b64 exec, s[36:37]                                   // 00000000749C: BEFE0124
	s_mov_b64 exec, s[22:23]                                   // 0000000074A0: BEFE0116
	global_atomic_pk_add_f16 v82, v66, s[8:9]                  // 0000000074A4: DD388000 00084252
	s_mov_b64 exec, s[36:37]                                   // 0000000074AC: BEFE0124
	s_mov_b64 exec, s[22:23]                                   // 0000000074B0: BEFE0116
	global_atomic_pk_add_f16 v82, v67, s[8:9] offset:256       // 0000000074B4: DD388100 00084352
	s_mov_b64 exec, s[36:37]                                   // 0000000074BC: BEFE0124
	s_mov_b64 exec, s[24:25]                                   // 0000000074C0: BEFE0118
	global_atomic_pk_add_f16 v84, v68, s[8:9]                  // 0000000074C4: DD388000 00084454
	s_mov_b64 exec, s[36:37]                                   // 0000000074CC: BEFE0124
	s_mov_b64 exec, s[24:25]                                   // 0000000074D0: BEFE0118
	global_atomic_pk_add_f16 v84, v69, s[8:9] offset:256       // 0000000074D4: DD388100 00084554
	s_mov_b64 exec, s[36:37]                                   // 0000000074DC: BEFE0124
	s_mov_b64 exec, s[26:27]                                   // 0000000074E0: BEFE011A
	global_atomic_pk_add_f16 v86, v70, s[8:9]                  // 0000000074E4: DD388000 00084656
	s_mov_b64 exec, s[36:37]                                   // 0000000074EC: BEFE0124
	s_mov_b64 exec, s[26:27]                                   // 0000000074F0: BEFE011A
	global_atomic_pk_add_f16 v86, v71, s[8:9] offset:256       // 0000000074F4: DD388100 00084756
	s_mov_b64 exec, s[36:37]                                   // 0000000074FC: BEFE0124
	s_mov_b64 exec, s[28:29]                                   // 000000007500: BEFE011C
	global_atomic_pk_add_f16 v88, v72, s[8:9]                  // 000000007504: DD388000 00084858
	s_mov_b64 exec, s[36:37]                                   // 00000000750C: BEFE0124
	s_mov_b64 exec, s[28:29]                                   // 000000007510: BEFE011C
	global_atomic_pk_add_f16 v88, v73, s[8:9] offset:256       // 000000007514: DD388100 00084958
	s_mov_b64 exec, s[36:37]                                   // 00000000751C: BEFE0124
	s_mov_b64 exec, s[30:31]                                   // 000000007520: BEFE011E
	global_atomic_pk_add_f16 v90, v74, s[8:9]                  // 000000007524: DD388000 00084A5A
	s_mov_b64 exec, s[36:37]                                   // 00000000752C: BEFE0124
	s_mov_b64 exec, s[30:31]                                   // 000000007530: BEFE011E
	global_atomic_pk_add_f16 v90, v75, s[8:9] offset:256       // 000000007534: DD388100 00084B5A
	s_mov_b64 exec, s[36:37]                                   // 00000000753C: BEFE0124
	s_mov_b64 exec, s[32:33]                                   // 000000007540: BEFE0120
	global_atomic_pk_add_f16 v92, v76, s[8:9]                  // 000000007544: DD388000 00084C5C
	s_mov_b64 exec, s[36:37]                                   // 00000000754C: BEFE0124
	s_mov_b64 exec, s[32:33]                                   // 000000007550: BEFE0120
	global_atomic_pk_add_f16 v92, v77, s[8:9] offset:256       // 000000007554: DD388100 00084D5C
	s_mov_b64 exec, s[36:37]                                   // 00000000755C: BEFE0124
	s_mov_b64 exec, s[34:35]                                   // 000000007560: BEFE0122
	global_atomic_pk_add_f16 v94, v78, s[8:9]                  // 000000007564: DD388000 00084E5E
	s_mov_b64 exec, s[36:37]                                   // 00000000756C: BEFE0124
	s_mov_b64 exec, s[34:35]                                   // 000000007570: BEFE0122
	global_atomic_pk_add_f16 v94, v79, s[8:9] offset:256       // 000000007574: DD388100 00084F5E
	s_mov_b64 exec, s[36:37]                                   // 00000000757C: BEFE0124
	s_add_u32 s8, s59, s8                                      // 000000007580: 8008083B
	s_addc_u32 s9, 0, s9                                       // 000000007584: 82090980
	s_addk_i32 s80, 0x100                                      // 000000007588: B7500100
	s_cmp_lt_i32 s80, s81                                      // 00000000758C: BF045150
	s_cbranch_scc0 label_0A19                                  // 000000007590: BF84F834
	s_branch label_0E5D                                        // 000000007594: BF82FC77

0000000000007598 <label_11E6>:
	s_waitcnt vmcnt(0) expcnt(0) lgkmcnt(0)                    // 000000007598: BF8C0000
	s_endpgm                                                   // 00000000759C: BF810000
